;; amdgpu-corpus repo=ROCm/rocFFT kind=compiled arch=gfx1100 opt=O3
	.text
	.amdgcn_target "amdgcn-amd-amdhsa--gfx1100"
	.amdhsa_code_object_version 6
	.protected	fft_rtc_back_len432_factors_3_16_3_3_wgs_54_tpt_27_halfLds_sp_op_CI_CI_unitstride_sbrr_R2C_dirReg ; -- Begin function fft_rtc_back_len432_factors_3_16_3_3_wgs_54_tpt_27_halfLds_sp_op_CI_CI_unitstride_sbrr_R2C_dirReg
	.globl	fft_rtc_back_len432_factors_3_16_3_3_wgs_54_tpt_27_halfLds_sp_op_CI_CI_unitstride_sbrr_R2C_dirReg
	.p2align	8
	.type	fft_rtc_back_len432_factors_3_16_3_3_wgs_54_tpt_27_halfLds_sp_op_CI_CI_unitstride_sbrr_R2C_dirReg,@function
fft_rtc_back_len432_factors_3_16_3_3_wgs_54_tpt_27_halfLds_sp_op_CI_CI_unitstride_sbrr_R2C_dirReg: ; @fft_rtc_back_len432_factors_3_16_3_3_wgs_54_tpt_27_halfLds_sp_op_CI_CI_unitstride_sbrr_R2C_dirReg
; %bb.0:
	s_clause 0x2
	s_load_b128 s[8:11], s[0:1], 0x0
	s_load_b128 s[4:7], s[0:1], 0x58
	;; [unrolled: 1-line block ×3, first 2 shown]
	v_mul_u32_u24_e32 v1, 0x97c, v0
	v_mov_b32_e32 v3, 0
	s_delay_alu instid0(VALU_DEP_2) | instskip(SKIP_2) | instid1(VALU_DEP_4)
	v_lshrrev_b32_e32 v7, 16, v1
	v_mov_b32_e32 v1, 0
	v_mov_b32_e32 v2, 0
	;; [unrolled: 1-line block ×3, first 2 shown]
	s_delay_alu instid0(VALU_DEP_4) | instskip(SKIP_2) | instid1(VALU_DEP_1)
	v_lshl_add_u32 v5, s15, 1, v7
	s_waitcnt lgkmcnt(0)
	v_cmp_lt_u64_e64 s2, s[10:11], 2
	s_and_b32 vcc_lo, exec_lo, s2
	s_cbranch_vccnz .LBB0_8
; %bb.1:
	s_load_b64 s[2:3], s[0:1], 0x10
	v_mov_b32_e32 v1, 0
	v_mov_b32_e32 v2, 0
	s_add_u32 s12, s18, 8
	s_addc_u32 s13, s19, 0
	s_add_u32 s14, s16, 8
	s_addc_u32 s15, s17, 0
	v_dual_mov_b32 v27, v2 :: v_dual_mov_b32 v26, v1
	s_mov_b64 s[22:23], 1
	s_waitcnt lgkmcnt(0)
	s_add_u32 s20, s2, 8
	s_addc_u32 s21, s3, 0
.LBB0_2:                                ; =>This Inner Loop Header: Depth=1
	s_load_b64 s[24:25], s[20:21], 0x0
                                        ; implicit-def: $vgpr32_vgpr33
	s_mov_b32 s2, exec_lo
	s_waitcnt lgkmcnt(0)
	v_or_b32_e32 v4, s25, v6
	s_delay_alu instid0(VALU_DEP_1)
	v_cmpx_ne_u64_e32 0, v[3:4]
	s_xor_b32 s3, exec_lo, s2
	s_cbranch_execz .LBB0_4
; %bb.3:                                ;   in Loop: Header=BB0_2 Depth=1
	v_cvt_f32_u32_e32 v4, s24
	v_cvt_f32_u32_e32 v8, s25
	s_sub_u32 s2, 0, s24
	s_subb_u32 s26, 0, s25
	s_delay_alu instid0(VALU_DEP_1) | instskip(NEXT) | instid1(VALU_DEP_1)
	v_fmac_f32_e32 v4, 0x4f800000, v8
	v_rcp_f32_e32 v4, v4
	s_waitcnt_depctr 0xfff
	v_mul_f32_e32 v4, 0x5f7ffffc, v4
	s_delay_alu instid0(VALU_DEP_1) | instskip(NEXT) | instid1(VALU_DEP_1)
	v_mul_f32_e32 v8, 0x2f800000, v4
	v_trunc_f32_e32 v8, v8
	s_delay_alu instid0(VALU_DEP_1) | instskip(SKIP_1) | instid1(VALU_DEP_2)
	v_fmac_f32_e32 v4, 0xcf800000, v8
	v_cvt_u32_f32_e32 v8, v8
	v_cvt_u32_f32_e32 v4, v4
	s_delay_alu instid0(VALU_DEP_2) | instskip(NEXT) | instid1(VALU_DEP_2)
	v_mul_lo_u32 v9, s2, v8
	v_mul_hi_u32 v10, s2, v4
	v_mul_lo_u32 v11, s26, v4
	s_delay_alu instid0(VALU_DEP_2) | instskip(SKIP_1) | instid1(VALU_DEP_2)
	v_add_nc_u32_e32 v9, v10, v9
	v_mul_lo_u32 v10, s2, v4
	v_add_nc_u32_e32 v9, v9, v11
	s_delay_alu instid0(VALU_DEP_2) | instskip(NEXT) | instid1(VALU_DEP_2)
	v_mul_hi_u32 v11, v4, v10
	v_mul_lo_u32 v12, v4, v9
	v_mul_hi_u32 v13, v4, v9
	v_mul_hi_u32 v14, v8, v10
	v_mul_lo_u32 v10, v8, v10
	v_mul_hi_u32 v15, v8, v9
	v_mul_lo_u32 v9, v8, v9
	v_add_co_u32 v11, vcc_lo, v11, v12
	v_add_co_ci_u32_e32 v12, vcc_lo, 0, v13, vcc_lo
	s_delay_alu instid0(VALU_DEP_2) | instskip(NEXT) | instid1(VALU_DEP_2)
	v_add_co_u32 v10, vcc_lo, v11, v10
	v_add_co_ci_u32_e32 v10, vcc_lo, v12, v14, vcc_lo
	v_add_co_ci_u32_e32 v11, vcc_lo, 0, v15, vcc_lo
	s_delay_alu instid0(VALU_DEP_2) | instskip(NEXT) | instid1(VALU_DEP_2)
	v_add_co_u32 v9, vcc_lo, v10, v9
	v_add_co_ci_u32_e32 v10, vcc_lo, 0, v11, vcc_lo
	s_delay_alu instid0(VALU_DEP_2) | instskip(NEXT) | instid1(VALU_DEP_2)
	v_add_co_u32 v4, vcc_lo, v4, v9
	v_add_co_ci_u32_e32 v8, vcc_lo, v8, v10, vcc_lo
	s_delay_alu instid0(VALU_DEP_2) | instskip(SKIP_1) | instid1(VALU_DEP_3)
	v_mul_hi_u32 v9, s2, v4
	v_mul_lo_u32 v11, s26, v4
	v_mul_lo_u32 v10, s2, v8
	s_delay_alu instid0(VALU_DEP_1) | instskip(SKIP_1) | instid1(VALU_DEP_2)
	v_add_nc_u32_e32 v9, v9, v10
	v_mul_lo_u32 v10, s2, v4
	v_add_nc_u32_e32 v9, v9, v11
	s_delay_alu instid0(VALU_DEP_2) | instskip(NEXT) | instid1(VALU_DEP_2)
	v_mul_hi_u32 v11, v4, v10
	v_mul_lo_u32 v12, v4, v9
	v_mul_hi_u32 v13, v4, v9
	v_mul_hi_u32 v14, v8, v10
	v_mul_lo_u32 v10, v8, v10
	v_mul_hi_u32 v15, v8, v9
	v_mul_lo_u32 v9, v8, v9
	v_add_co_u32 v11, vcc_lo, v11, v12
	v_add_co_ci_u32_e32 v12, vcc_lo, 0, v13, vcc_lo
	s_delay_alu instid0(VALU_DEP_2) | instskip(NEXT) | instid1(VALU_DEP_2)
	v_add_co_u32 v10, vcc_lo, v11, v10
	v_add_co_ci_u32_e32 v10, vcc_lo, v12, v14, vcc_lo
	v_add_co_ci_u32_e32 v11, vcc_lo, 0, v15, vcc_lo
	s_delay_alu instid0(VALU_DEP_2) | instskip(NEXT) | instid1(VALU_DEP_2)
	v_add_co_u32 v9, vcc_lo, v10, v9
	v_add_co_ci_u32_e32 v10, vcc_lo, 0, v11, vcc_lo
	s_delay_alu instid0(VALU_DEP_2) | instskip(NEXT) | instid1(VALU_DEP_2)
	v_add_co_u32 v4, vcc_lo, v4, v9
	v_add_co_ci_u32_e32 v14, vcc_lo, v8, v10, vcc_lo
	s_delay_alu instid0(VALU_DEP_2) | instskip(SKIP_1) | instid1(VALU_DEP_3)
	v_mul_hi_u32 v15, v5, v4
	v_mad_u64_u32 v[10:11], null, v6, v4, 0
	v_mad_u64_u32 v[8:9], null, v5, v14, 0
	;; [unrolled: 1-line block ×3, first 2 shown]
	s_delay_alu instid0(VALU_DEP_2) | instskip(NEXT) | instid1(VALU_DEP_3)
	v_add_co_u32 v4, vcc_lo, v15, v8
	v_add_co_ci_u32_e32 v8, vcc_lo, 0, v9, vcc_lo
	s_delay_alu instid0(VALU_DEP_2) | instskip(NEXT) | instid1(VALU_DEP_2)
	v_add_co_u32 v4, vcc_lo, v4, v10
	v_add_co_ci_u32_e32 v4, vcc_lo, v8, v11, vcc_lo
	v_add_co_ci_u32_e32 v8, vcc_lo, 0, v13, vcc_lo
	s_delay_alu instid0(VALU_DEP_2) | instskip(NEXT) | instid1(VALU_DEP_2)
	v_add_co_u32 v4, vcc_lo, v4, v12
	v_add_co_ci_u32_e32 v10, vcc_lo, 0, v8, vcc_lo
	s_delay_alu instid0(VALU_DEP_2) | instskip(SKIP_1) | instid1(VALU_DEP_3)
	v_mul_lo_u32 v11, s25, v4
	v_mad_u64_u32 v[8:9], null, s24, v4, 0
	v_mul_lo_u32 v12, s24, v10
	s_delay_alu instid0(VALU_DEP_2) | instskip(NEXT) | instid1(VALU_DEP_2)
	v_sub_co_u32 v8, vcc_lo, v5, v8
	v_add3_u32 v9, v9, v12, v11
	s_delay_alu instid0(VALU_DEP_1) | instskip(NEXT) | instid1(VALU_DEP_1)
	v_sub_nc_u32_e32 v11, v6, v9
	v_subrev_co_ci_u32_e64 v11, s2, s25, v11, vcc_lo
	v_add_co_u32 v12, s2, v4, 2
	s_delay_alu instid0(VALU_DEP_1) | instskip(SKIP_3) | instid1(VALU_DEP_3)
	v_add_co_ci_u32_e64 v13, s2, 0, v10, s2
	v_sub_co_u32 v14, s2, v8, s24
	v_sub_co_ci_u32_e32 v9, vcc_lo, v6, v9, vcc_lo
	v_subrev_co_ci_u32_e64 v11, s2, 0, v11, s2
	v_cmp_le_u32_e32 vcc_lo, s24, v14
	s_delay_alu instid0(VALU_DEP_3) | instskip(SKIP_1) | instid1(VALU_DEP_4)
	v_cmp_eq_u32_e64 s2, s25, v9
	v_cndmask_b32_e64 v14, 0, -1, vcc_lo
	v_cmp_le_u32_e32 vcc_lo, s25, v11
	v_cndmask_b32_e64 v15, 0, -1, vcc_lo
	v_cmp_le_u32_e32 vcc_lo, s24, v8
	;; [unrolled: 2-line block ×3, first 2 shown]
	v_cndmask_b32_e64 v16, 0, -1, vcc_lo
	v_cmp_eq_u32_e32 vcc_lo, s25, v11
	s_delay_alu instid0(VALU_DEP_2) | instskip(SKIP_3) | instid1(VALU_DEP_3)
	v_cndmask_b32_e64 v8, v16, v8, s2
	v_cndmask_b32_e32 v11, v15, v14, vcc_lo
	v_add_co_u32 v14, vcc_lo, v4, 1
	v_add_co_ci_u32_e32 v15, vcc_lo, 0, v10, vcc_lo
	v_cmp_ne_u32_e32 vcc_lo, 0, v11
	s_delay_alu instid0(VALU_DEP_3) | instskip(NEXT) | instid1(VALU_DEP_3)
	v_cndmask_b32_e32 v11, v14, v12, vcc_lo
	v_cndmask_b32_e32 v9, v15, v13, vcc_lo
	v_cmp_ne_u32_e32 vcc_lo, 0, v8
	s_delay_alu instid0(VALU_DEP_2)
	v_dual_cndmask_b32 v32, v4, v11 :: v_dual_cndmask_b32 v33, v10, v9
.LBB0_4:                                ;   in Loop: Header=BB0_2 Depth=1
	s_and_not1_saveexec_b32 s2, s3
	s_cbranch_execz .LBB0_6
; %bb.5:                                ;   in Loop: Header=BB0_2 Depth=1
	v_cvt_f32_u32_e32 v4, s24
	s_sub_i32 s3, 0, s24
	v_mov_b32_e32 v33, v3
	s_delay_alu instid0(VALU_DEP_2) | instskip(SKIP_2) | instid1(VALU_DEP_1)
	v_rcp_iflag_f32_e32 v4, v4
	s_waitcnt_depctr 0xfff
	v_mul_f32_e32 v4, 0x4f7ffffe, v4
	v_cvt_u32_f32_e32 v4, v4
	s_delay_alu instid0(VALU_DEP_1) | instskip(NEXT) | instid1(VALU_DEP_1)
	v_mul_lo_u32 v8, s3, v4
	v_mul_hi_u32 v8, v4, v8
	s_delay_alu instid0(VALU_DEP_1) | instskip(NEXT) | instid1(VALU_DEP_1)
	v_add_nc_u32_e32 v4, v4, v8
	v_mul_hi_u32 v4, v5, v4
	s_delay_alu instid0(VALU_DEP_1) | instskip(NEXT) | instid1(VALU_DEP_1)
	v_mul_lo_u32 v8, v4, s24
	v_sub_nc_u32_e32 v8, v5, v8
	s_delay_alu instid0(VALU_DEP_1) | instskip(SKIP_1) | instid1(VALU_DEP_2)
	v_subrev_nc_u32_e32 v10, s24, v8
	v_cmp_le_u32_e32 vcc_lo, s24, v8
	v_dual_cndmask_b32 v8, v8, v10 :: v_dual_add_nc_u32 v9, 1, v4
	s_delay_alu instid0(VALU_DEP_1) | instskip(NEXT) | instid1(VALU_DEP_2)
	v_cndmask_b32_e32 v4, v4, v9, vcc_lo
	v_cmp_le_u32_e32 vcc_lo, s24, v8
	s_delay_alu instid0(VALU_DEP_2) | instskip(NEXT) | instid1(VALU_DEP_1)
	v_add_nc_u32_e32 v9, 1, v4
	v_cndmask_b32_e32 v32, v4, v9, vcc_lo
.LBB0_6:                                ;   in Loop: Header=BB0_2 Depth=1
	s_or_b32 exec_lo, exec_lo, s2
	s_delay_alu instid0(VALU_DEP_1) | instskip(NEXT) | instid1(VALU_DEP_2)
	v_mul_lo_u32 v4, v33, s24
	v_mul_lo_u32 v10, v32, s25
	s_load_b64 s[2:3], s[14:15], 0x0
	v_mad_u64_u32 v[8:9], null, v32, s24, 0
	s_load_b64 s[24:25], s[12:13], 0x0
	s_add_u32 s22, s22, 1
	s_addc_u32 s23, s23, 0
	s_add_u32 s12, s12, 8
	s_addc_u32 s13, s13, 0
	s_add_u32 s14, s14, 8
	s_delay_alu instid0(VALU_DEP_1) | instskip(SKIP_3) | instid1(VALU_DEP_2)
	v_add3_u32 v4, v9, v10, v4
	v_sub_co_u32 v10, vcc_lo, v5, v8
	s_addc_u32 s15, s15, 0
	s_add_u32 s20, s20, 8
	v_sub_co_ci_u32_e32 v6, vcc_lo, v6, v4, vcc_lo
	s_addc_u32 s21, s21, 0
	s_waitcnt lgkmcnt(0)
	s_delay_alu instid0(VALU_DEP_1)
	v_mul_lo_u32 v11, s2, v6
	v_mul_lo_u32 v12, s3, v10
	v_mad_u64_u32 v[4:5], null, s2, v10, v[1:2]
	v_mul_lo_u32 v6, s24, v6
	v_mul_lo_u32 v13, s25, v10
	v_mad_u64_u32 v[8:9], null, s24, v10, v[26:27]
	v_cmp_ge_u64_e64 s2, s[22:23], s[10:11]
	v_add3_u32 v2, v12, v5, v11
	v_mov_b32_e32 v1, v4
	s_delay_alu instid0(VALU_DEP_4)
	v_add3_u32 v27, v13, v9, v6
	v_mov_b32_e32 v26, v8
	s_and_b32 vcc_lo, exec_lo, s2
	s_cbranch_vccnz .LBB0_9
; %bb.7:                                ;   in Loop: Header=BB0_2 Depth=1
	v_dual_mov_b32 v5, v32 :: v_dual_mov_b32 v6, v33
	s_branch .LBB0_2
.LBB0_8:
	v_dual_mov_b32 v27, v2 :: v_dual_mov_b32 v26, v1
	v_dual_mov_b32 v33, v6 :: v_dual_mov_b32 v32, v5
.LBB0_9:
	s_load_b64 s[0:1], s[0:1], 0x28
	v_and_b32_e32 v4, 1, v7
	v_mul_hi_u32 v3, 0x97b425f, v0
	s_lshl_b64 s[10:11], s[10:11], 3
                                        ; implicit-def: $vgpr28
                                        ; implicit-def: $vgpr30
                                        ; implicit-def: $vgpr40
                                        ; implicit-def: $vgpr38
                                        ; implicit-def: $vgpr36
                                        ; implicit-def: $vgpr34
	s_delay_alu instid0(SALU_CYCLE_1)
	s_add_u32 s2, s18, s10
	s_addc_u32 s3, s19, s11
	s_waitcnt lgkmcnt(0)
	v_cmp_gt_u64_e32 vcc_lo, s[0:1], v[32:33]
	v_cmp_le_u64_e64 s1, s[0:1], v[32:33]
	v_cmp_eq_u32_e64 s0, 1, v4
	s_delay_alu instid0(VALU_DEP_2) | instskip(NEXT) | instid1(SALU_CYCLE_1)
	s_and_saveexec_b32 s12, s1
	s_xor_b32 s1, exec_lo, s12
; %bb.10:
	v_mul_u32_u24_e32 v1, 27, v3
                                        ; implicit-def: $vgpr3
	s_delay_alu instid0(VALU_DEP_1) | instskip(NEXT) | instid1(VALU_DEP_1)
	v_sub_nc_u32_e32 v28, v0, v1
                                        ; implicit-def: $vgpr0
                                        ; implicit-def: $vgpr1_vgpr2
	v_add_nc_u32_e32 v30, 27, v28
	v_add_nc_u32_e32 v40, 54, v28
	;; [unrolled: 1-line block ×5, first 2 shown]
; %bb.11:
	s_or_saveexec_b32 s1, s1
	v_cndmask_b32_e64 v4, 0, 0x1b1, s0
	s_delay_alu instid0(VALU_DEP_1)
	v_lshlrev_b32_e32 v35, 3, v4
	s_xor_b32 exec_lo, exec_lo, s1
	s_cbranch_execz .LBB0_13
; %bb.12:
	s_add_u32 s10, s16, s10
	s_addc_u32 s11, s17, s11
	v_lshlrev_b64 v[1:2], 3, v[1:2]
	s_load_b64 s[10:11], s[10:11], 0x0
	s_waitcnt lgkmcnt(0)
	v_mul_lo_u32 v6, s11, v32
	v_mul_lo_u32 v7, s10, v33
	v_mad_u64_u32 v[4:5], null, s10, v32, 0
	s_delay_alu instid0(VALU_DEP_1) | instskip(SKIP_1) | instid1(VALU_DEP_2)
	v_add3_u32 v5, v5, v7, v6
	v_mul_u32_u24_e32 v6, 27, v3
	v_lshlrev_b64 v[3:4], 3, v[4:5]
	s_delay_alu instid0(VALU_DEP_2) | instskip(NEXT) | instid1(VALU_DEP_1)
	v_sub_nc_u32_e32 v28, v0, v6
	v_lshlrev_b32_e32 v29, 3, v28
	s_delay_alu instid0(VALU_DEP_3) | instskip(NEXT) | instid1(VALU_DEP_1)
	v_add_co_u32 v0, s0, s4, v3
	v_add_co_ci_u32_e64 v3, s0, s5, v4, s0
	v_add_nc_u32_e32 v30, 27, v28
	s_delay_alu instid0(VALU_DEP_3) | instskip(NEXT) | instid1(VALU_DEP_1)
	v_add_co_u32 v0, s0, v0, v1
	v_add_co_ci_u32_e64 v1, s0, v3, v2, s0
	v_add_nc_u32_e32 v40, 54, v28
	s_delay_alu instid0(VALU_DEP_3) | instskip(NEXT) | instid1(VALU_DEP_1)
	v_add_co_u32 v0, s0, v0, v29
	v_add_co_ci_u32_e64 v1, s0, 0, v1, s0
	s_clause 0xf
	global_load_b64 v[2:3], v[0:1], off
	global_load_b64 v[4:5], v[0:1], off offset:216
	global_load_b64 v[6:7], v[0:1], off offset:432
	;; [unrolled: 1-line block ×15, first 2 shown]
	v_add3_u32 v29, 0, v35, v29
	v_add_nc_u32_e32 v38, 0x51, v28
	v_add_nc_u32_e32 v36, 0x6c, v28
	;; [unrolled: 1-line block ×3, first 2 shown]
	s_delay_alu instid0(VALU_DEP_4)
	v_add_nc_u32_e32 v31, 0x800, v29
	s_waitcnt vmcnt(14)
	ds_store_2addr_b64 v29, v[2:3], v[4:5] offset1:27
	s_waitcnt vmcnt(12)
	ds_store_2addr_b64 v29, v[6:7], v[8:9] offset0:54 offset1:81
	s_waitcnt vmcnt(10)
	ds_store_2addr_b64 v29, v[10:11], v[12:13] offset0:108 offset1:135
	;; [unrolled: 2-line block ×7, first 2 shown]
.LBB0_13:
	s_or_b32 exec_lo, exec_lo, s1
	v_lshlrev_b32_e32 v29, 3, v28
	v_add_nc_u32_e32 v55, 0, v35
	s_load_b64 s[2:3], s[2:3], 0x0
	s_waitcnt lgkmcnt(0)
	s_barrier
	v_add_nc_u32_e32 v0, 0, v29
	buffer_gl0_inv
	v_cmp_gt_u32_e64 s0, 9, v28
	v_add_nc_u32_e32 v31, v0, v35
	ds_load_2addr_b64 v[0:3], v31 offset0:135 offset1:144
	v_add_nc_u32_e32 v56, v55, v29
	v_add_nc_u32_e32 v14, 0x800, v31
	ds_load_b64 v[23:24], v56
	ds_load_2addr_b64 v[10:13], v31 offset0:27 offset1:54
	ds_load_2addr_b64 v[15:18], v31 offset0:171 offset1:198
	ds_load_2addr_b64 v[4:7], v14 offset0:23 offset1:32
	ds_load_2addr_b64 v[19:22], v14 offset0:59 offset1:86
	ds_load_2addr_b64 v[41:44], v31 offset0:81 offset1:108
	ds_load_2addr_b64 v[45:48], v31 offset0:225 offset1:252
	ds_load_b64 v[8:9], v31 offset:3384
	ds_load_2addr_b64 v[49:52], v14 offset0:113 offset1:140
	s_waitcnt lgkmcnt(0)
	s_barrier
	buffer_gl0_inv
	v_add_f32_e32 v59, v12, v17
	v_add_f32_e32 v25, v23, v2
	v_dual_add_f32 v37, v24, v3 :: v_dual_add_f32 v58, v11, v16
	v_sub_f32_e32 v60, v3, v7
	v_add_f32_e32 v3, v3, v7
	v_add_f32_e32 v39, v10, v15
	;; [unrolled: 1-line block ×3, first 2 shown]
	v_dual_add_f32 v25, v2, v6 :: v_dual_add_f32 v54, v37, v7
	v_sub_f32_e32 v2, v2, v6
	v_add_f32_e32 v6, v15, v19
	v_add_f32_e32 v58, v58, v20
	v_dual_sub_f32 v7, v16, v20 :: v_dual_fmac_f32 v24, -0.5, v3
	v_dual_add_f32 v16, v16, v20 :: v_dual_sub_f32 v37, v15, v19
	v_fma_f32 v23, -0.5, v25, v23
	v_add_f32_e32 v57, v39, v19
	v_add_f32_e32 v19, v17, v21
	v_fma_f32 v15, -0.5, v6, v10
	v_fma_f32 v16, -0.5, v16, v11
	v_dual_fmamk_f32 v11, v2, 0x3f5db3d7, v24 :: v_dual_add_f32 v6, v45, v49
	v_fmac_f32_e32 v24, 0xbf5db3d7, v2
	v_add_f32_e32 v2, v18, v22
	s_delay_alu instid0(VALU_DEP_4)
	v_dual_sub_f32 v39, v18, v22 :: v_dual_fmamk_f32 v20, v37, 0x3f5db3d7, v16
	v_fma_f32 v12, -0.5, v19, v12
	v_dual_fmamk_f32 v19, v7, 0xbf5db3d7, v15 :: v_dual_fmac_f32 v16, 0xbf5db3d7, v37
	v_fmac_f32_e32 v15, 0x3f5db3d7, v7
	v_add_f32_e32 v59, v59, v21
	v_add_f32_e32 v3, v13, v18
	v_dual_fmac_f32 v13, -0.5, v2 :: v_dual_sub_f32 v2, v17, v21
	v_fma_f32 v17, -0.5, v6, v41
	v_sub_f32_e32 v6, v46, v50
	v_fmamk_f32 v10, v60, 0xbf5db3d7, v23
	v_fmac_f32_e32 v23, 0x3f5db3d7, v60
	v_fmamk_f32 v61, v39, 0xbf5db3d7, v12
	v_sub_f32_e32 v25, v47, v51
	v_fmamk_f32 v63, v6, 0xbf5db3d7, v17
	v_dual_fmac_f32 v17, 0x3f5db3d7, v6 :: v_dual_add_f32 v6, v47, v51
	v_fmamk_f32 v62, v2, 0x3f5db3d7, v13
	v_dual_add_f32 v60, v3, v22 :: v_dual_add_f32 v3, v41, v45
	v_fmac_f32_e32 v13, 0xbf5db3d7, v2
	v_add_f32_e32 v2, v46, v50
	s_delay_alu instid0(VALU_DEP_3) | instskip(SKIP_1) | instid1(VALU_DEP_3)
	v_dual_fmac_f32 v12, 0x3f5db3d7, v39 :: v_dual_add_f32 v21, v3, v49
	v_add_f32_e32 v3, v42, v46
	v_fma_f32 v18, -0.5, v2, v42
	v_sub_f32_e32 v2, v45, v49
	s_delay_alu instid0(VALU_DEP_1)
	v_fmamk_f32 v64, v2, 0x3f5db3d7, v18
	v_fmac_f32_e32 v18, 0xbf5db3d7, v2
	v_add_f32_e32 v2, v44, v48
	v_add_f32_e32 v22, v3, v50
	;; [unrolled: 1-line block ×3, first 2 shown]
	v_fma_f32 v43, -0.5, v6, v43
	v_sub_f32_e32 v6, v48, v52
	v_add_f32_e32 v46, v2, v52
	s_delay_alu instid0(VALU_DEP_2) | instskip(SKIP_3) | instid1(VALU_DEP_3)
	v_fmamk_f32 v49, v6, 0xbf5db3d7, v43
	v_dual_fmac_f32 v43, 0x3f5db3d7, v6 :: v_dual_add_f32 v6, v4, v8
	v_add_f32_e32 v45, v3, v51
	v_add_f32_e32 v3, v48, v52
	v_fma_f32 v2, -0.5, v6, v0
	v_sub_f32_e32 v6, v5, v9
	s_delay_alu instid0(VALU_DEP_3) | instskip(NEXT) | instid1(VALU_DEP_2)
	v_dual_add_f32 v7, v5, v9 :: v_dual_fmac_f32 v44, -0.5, v3
	v_fmamk_f32 v41, v6, 0xbf5db3d7, v2
	v_fmac_f32_e32 v2, 0x3f5db3d7, v6
	s_delay_alu instid0(VALU_DEP_3) | instskip(NEXT) | instid1(VALU_DEP_4)
	v_fma_f32 v3, -0.5, v7, v1
	v_dual_sub_f32 v7, v4, v8 :: v_dual_fmamk_f32 v50, v25, 0x3f5db3d7, v44
	v_fmac_f32_e32 v44, 0xbf5db3d7, v25
	v_mad_i32_i24 v6, v40, 24, 0
	v_mad_i32_i24 v25, v30, 24, v55
	s_delay_alu instid0(VALU_DEP_4)
	v_fmamk_f32 v42, v7, 0x3f5db3d7, v3
	v_fmac_f32_e32 v3, 0xbf5db3d7, v7
	v_mad_u32_u24 v7, v28, 24, v55
	ds_store_2addr_b64 v7, v[53:54], v[10:11] offset1:1
	ds_store_b64 v7, v[23:24] offset:16
	v_add_nc_u32_e32 v11, v6, v35
	v_mad_i32_i24 v7, v38, 24, 0
	v_mad_i32_i24 v10, v36, 24, 0
	ds_store_2addr_b64 v25, v[57:58], v[19:20] offset1:1
	ds_store_b64 v25, v[15:16] offset:16
	ds_store_2addr_b64 v11, v[59:60], v[61:62] offset1:1
	ds_store_b64 v11, v[12:13] offset:16
	v_add_nc_u32_e32 v15, v7, v35
	v_add_nc_u32_e32 v16, v10, v35
	ds_store_2addr_b64 v15, v[21:22], v[63:64] offset1:1
	ds_store_b64 v15, v[17:18] offset:16
	ds_store_2addr_b64 v16, v[45:46], v[49:50] offset1:1
	ds_store_b64 v16, v[43:44] offset:16
	s_and_saveexec_b32 s1, s0
	s_cbranch_execz .LBB0_15
; %bb.14:
	v_dual_add_f32 v1, v1, v5 :: v_dual_add_f32 v0, v0, v4
	v_mul_i32_i24_e32 v4, 24, v34
	s_delay_alu instid0(VALU_DEP_2) | instskip(NEXT) | instid1(VALU_DEP_2)
	v_dual_add_f32 v1, v1, v9 :: v_dual_add_f32 v0, v0, v8
	v_add3_u32 v4, 0, v4, v35
	ds_store_2addr_b64 v4, v[0:1], v[41:42] offset1:1
	ds_store_b64 v4, v[2:3] offset:16
.LBB0_15:
	s_or_b32 exec_lo, exec_lo, s1
	v_and_b32_e32 v0, 0xff, v28
	s_waitcnt lgkmcnt(0)
	s_barrier
	buffer_gl0_inv
	v_mul_lo_u16 v0, 0xab, v0
	s_delay_alu instid0(VALU_DEP_1) | instskip(NEXT) | instid1(VALU_DEP_1)
	v_lshrrev_b16 v4, 9, v0
	v_mul_lo_u16 v0, v4, 3
	s_delay_alu instid0(VALU_DEP_1) | instskip(NEXT) | instid1(VALU_DEP_1)
	v_sub_nc_u16 v0, v28, v0
	v_and_b32_e32 v25, 0xff, v0
	s_delay_alu instid0(VALU_DEP_1) | instskip(NEXT) | instid1(VALU_DEP_1)
	v_mul_u32_u24_e32 v0, 15, v25
	v_lshlrev_b32_e32 v0, 3, v0
	s_clause 0x7
	global_load_b128 v[15:18], v0, s[8:9]
	global_load_b128 v[19:22], v0, s[8:9] offset:16
	global_load_b128 v[43:46], v0, s[8:9] offset:32
	;; [unrolled: 1-line block ×6, first 2 shown]
	global_load_b64 v[0:1], v0, s[8:9] offset:112
	v_lshlrev_b32_e32 v9, 3, v30
	v_lshlrev_b32_e32 v5, 4, v40
	v_and_b32_e32 v4, 0xffff, v4
	s_delay_alu instid0(VALU_DEP_3) | instskip(NEXT) | instid1(VALU_DEP_3)
	v_add3_u32 v57, 0, v9, v35
	v_sub_nc_u32_e32 v5, v6, v5
	s_delay_alu instid0(VALU_DEP_3)
	v_mul_u32_u24_e32 v68, 48, v4
	ds_load_b64 v[12:13], v56
	ds_load_b64 v[23:24], v57
	v_lshlrev_b32_e32 v8, 4, v38
	v_add_nc_u32_e32 v39, v5, v35
	s_waitcnt vmcnt(7) lgkmcnt(0)
	v_mul_f32_e32 v89, v16, v24
	s_delay_alu instid0(VALU_DEP_3) | instskip(SKIP_2) | instid1(VALU_DEP_4)
	v_sub_nc_u32_e32 v6, v7, v8
	v_dual_mul_f32 v16, v16, v23 :: v_dual_lshlrev_b32 v7, 3, v34
	v_or_b32_e32 v25, v68, v25
	v_fmac_f32_e32 v89, v15, v23
	s_delay_alu instid0(VALU_DEP_4) | instskip(NEXT) | instid1(VALU_DEP_4)
	v_add_nc_u32_e32 v37, v6, v35
	v_add3_u32 v59, 0, v7, v35
	v_fma_f32 v15, v15, v24, -v16
	ds_load_b64 v[80:81], v39
	ds_load_b64 v[82:83], v37
	s_waitcnt lgkmcnt(1)
	v_dual_mul_f32 v90, v18, v81 :: v_dual_lshlrev_b32 v11, 4, v36
	s_waitcnt vmcnt(6) lgkmcnt(0)
	v_mul_f32_e32 v91, v20, v83
	v_mul_f32_e32 v20, v20, v82
	s_delay_alu instid0(VALU_DEP_3) | instskip(SKIP_1) | instid1(VALU_DEP_4)
	v_sub_nc_u32_e32 v8, v10, v11
	v_dual_mul_f32 v18, v18, v80 :: v_dual_lshlrev_b32 v25, 3, v25
	v_dual_fmac_f32 v90, v17, v80 :: v_dual_fmac_f32 v91, v19, v82
	s_delay_alu instid0(VALU_DEP_3) | instskip(NEXT) | instid1(VALU_DEP_3)
	v_add_nc_u32_e32 v58, v8, v35
	v_fma_f32 v17, v17, v81, -v18
	ds_load_b64 v[84:85], v58
	ds_load_2addr_b64 v[4:7], v31 offset0:162 offset1:189
	ds_load_2addr_b64 v[8:11], v31 offset0:216 offset1:243
	ds_load_b64 v[86:87], v59
	ds_load_2addr_b64 v[68:71], v14 offset0:14 offset1:41
	ds_load_2addr_b64 v[72:75], v14 offset0:68 offset1:95
	;; [unrolled: 1-line block ×3, first 2 shown]
	v_add_nc_u32_e32 v88, 0x400, v31
	v_fma_f32 v19, v19, v83, -v20
	v_add3_u32 v25, 0, v25, v35
	s_waitcnt vmcnt(0) lgkmcnt(0)
	s_barrier
	buffer_gl0_inv
	v_mul_f32_e32 v18, v86, v44
	v_mul_f32_e32 v92, v85, v22
	v_dual_mul_f32 v81, v73, v63 :: v_dual_mul_f32 v16, v84, v22
	v_dual_mul_f32 v22, v87, v44 :: v_dual_mul_f32 v23, v5, v46
	v_mul_f32_e32 v24, v4, v46
	v_mul_f32_e32 v44, v7, v48
	;; [unrolled: 1-line block ×3, first 2 shown]
	s_delay_alu instid0(VALU_DEP_4)
	v_dual_mul_f32 v48, v9, v50 :: v_dual_fmac_f32 v23, v4, v45
	v_mul_f32_e32 v20, v8, v50
	v_mul_f32_e32 v50, v11, v52
	v_fma_f32 v16, v85, v21, -v16
	v_fma_f32 v18, v87, v43, -v18
	v_fmac_f32_e32 v48, v8, v49
	v_fmac_f32_e32 v22, v86, v43
	v_mul_f32_e32 v43, v72, v63
	v_mul_f32_e32 v63, v75, v65
	v_dual_fmac_f32 v92, v84, v21 :: v_dual_mul_f32 v21, v10, v52
	v_mul_f32_e32 v52, v69, v54
	v_mul_f32_e32 v54, v68, v54
	v_dual_mul_f32 v80, v71, v61 :: v_dual_fmac_f32 v81, v72, v62
	v_mul_f32_e32 v61, v70, v61
	v_fma_f32 v4, v5, v45, -v24
	v_mul_f32_e32 v5, v74, v65
	v_mul_f32_e32 v45, v76, v67
	v_dual_mul_f32 v65, v79, v1 :: v_dual_mul_f32 v24, v77, v67
	v_mul_f32_e32 v1, v78, v1
	v_fmac_f32_e32 v63, v74, v64
	v_fmac_f32_e32 v44, v6, v47
	v_fma_f32 v6, v7, v47, -v46
	v_fma_f32 v7, v9, v49, -v20
	;; [unrolled: 1-line block ×3, first 2 shown]
	v_fmac_f32_e32 v50, v10, v51
	v_fma_f32 v8, v11, v51, -v21
	v_fma_f32 v11, v73, v62, -v43
	;; [unrolled: 1-line block ×3, first 2 shown]
	v_sub_f32_e32 v9, v17, v9
	v_dual_fmac_f32 v52, v68, v53 :: v_dual_sub_f32 v45, v89, v50
	v_dual_fmac_f32 v65, v78, v0 :: v_dual_fmac_f32 v24, v76, v66
	v_dual_fmac_f32 v80, v70, v60 :: v_dual_sub_f32 v11, v16, v11
	v_fma_f32 v10, v71, v60, -v61
	v_fma_f32 v5, v75, v64, -v5
	;; [unrolled: 1-line block ×3, first 2 shown]
	v_sub_f32_e32 v7, v13, v7
	v_sub_f32_e32 v1, v12, v48
	v_sub_f32_e32 v21, v92, v81
	v_sub_f32_e32 v43, v90, v52
	v_dual_sub_f32 v24, v23, v24 :: v_dual_sub_f32 v5, v18, v5
	v_sub_f32_e32 v20, v4, v20
	v_sub_f32_e32 v8, v15, v8
	v_dual_sub_f32 v46, v22, v63 :: v_dual_sub_f32 v47, v91, v80
	v_sub_f32_e32 v0, v6, v0
	v_fma_f32 v12, v12, 2.0, -v1
	v_fma_f32 v49, v92, 2.0, -v21
	v_sub_f32_e32 v21, v7, v21
	v_sub_f32_e32 v10, v19, v10
	v_fma_f32 v16, v16, 2.0, -v11
	v_fma_f32 v50, v90, 2.0, -v43
	v_sub_f32_e32 v49, v12, v49
	v_fma_f32 v23, v23, 2.0, -v24
	v_dual_sub_f32 v48, v44, v65 :: v_dual_add_f32 v11, v1, v11
	v_fma_f32 v13, v13, 2.0, -v7
	v_fma_f32 v22, v22, 2.0, -v46
	;; [unrolled: 1-line block ×4, first 2 shown]
	v_add_f32_e32 v5, v45, v5
	v_fma_f32 v15, v15, 2.0, -v8
	v_fma_f32 v53, v1, 2.0, -v11
	v_sub_f32_e32 v1, v50, v23
	v_fma_f32 v44, v44, 2.0, -v48
	v_sub_f32_e32 v48, v10, v48
	v_fma_f32 v7, v7, 2.0, -v21
	v_sub_f32_e32 v46, v8, v46
	v_fma_f32 v4, v4, 2.0, -v20
	v_add_f32_e32 v20, v43, v20
	v_sub_f32_e32 v44, v52, v44
	v_fma_f32 v51, v89, 2.0, -v45
	v_dual_fmamk_f32 v61, v48, 0x3f3504f3, v46 :: v_dual_sub_f32 v18, v15, v18
	v_fma_f32 v6, v6, 2.0, -v0
	v_sub_f32_e32 v24, v9, v24
	v_fma_f32 v52, v52, 2.0, -v44
	v_fma_f32 v17, v17, 2.0, -v9
	v_sub_f32_e32 v44, v18, v44
	v_sub_f32_e32 v16, v13, v16
	v_add_f32_e32 v0, v47, v0
	v_fma_f32 v23, v43, 2.0, -v20
	v_fma_f32 v43, v45, 2.0, -v5
	;; [unrolled: 1-line block ×3, first 2 shown]
	v_sub_f32_e32 v65, v16, v1
	v_fma_f32 v45, v47, 2.0, -v0
	v_fmamk_f32 v47, v20, 0x3f3504f3, v11
	v_fma_f32 v9, v9, 2.0, -v24
	v_sub_f32_e32 v22, v51, v22
	v_fma_f32 v12, v12, 2.0, -v49
	v_fma_f32 v50, v50, 2.0, -v1
	v_fmac_f32_e32 v47, 0x3f3504f3, v24
	v_fmamk_f32 v63, v9, 0xbf3504f3, v7
	v_fma_f32 v51, v51, 2.0, -v22
	v_fma_f32 v8, v8, 2.0, -v46
	v_fmamk_f32 v54, v24, 0x3f3504f3, v21
	v_fmamk_f32 v24, v45, 0xbf3504f3, v43
	v_fmac_f32_e32 v63, 0xbf3504f3, v23
	v_fma_f32 v10, v10, 2.0, -v48
	v_fma_f32 v68, v11, 2.0, -v47
	v_dual_sub_f32 v11, v51, v52 :: v_dual_fmamk_f32 v60, v0, 0x3f3504f3, v5
	v_fmamk_f32 v1, v44, 0x3f3504f3, v65
	s_delay_alu instid0(VALU_DEP_4)
	v_fmamk_f32 v66, v10, 0xbf3504f3, v8
	v_fmac_f32_e32 v24, 0x3f3504f3, v10
	v_fmac_f32_e32 v54, 0xbf3504f3, v20
	;; [unrolled: 1-line block ×3, first 2 shown]
	v_sub_f32_e32 v48, v12, v50
	v_dual_fmac_f32 v66, 0xbf3504f3, v45 :: v_dual_fmac_f32 v61, 0xbf3504f3, v0
	v_fma_f32 v67, v16, 2.0, -v65
	v_fma_f32 v69, v21, 2.0, -v54
	s_delay_alu instid0(VALU_DEP_4)
	v_fma_f32 v45, v12, 2.0, -v48
	v_fmamk_f32 v62, v23, 0xbf3504f3, v53
	v_fma_f32 v21, v18, 2.0, -v44
	v_sub_f32_e32 v6, v19, v6
	v_fma_f32 v23, v46, 2.0, -v61
	v_sub_f32_e32 v4, v17, v4
	v_fmac_f32_e32 v62, 0x3f3504f3, v9
	v_fma_f32 v15, v15, 2.0, -v18
	v_fma_f32 v13, v13, 2.0, -v16
	v_fmamk_f32 v9, v23, 0xbec3ef15, v69
	v_fma_f32 v17, v17, 2.0, -v4
	v_fma_f32 v52, v53, 2.0, -v62
	;; [unrolled: 1-line block ×3, first 2 shown]
	v_fmamk_f32 v7, v21, 0xbf3504f3, v67
	v_fma_f32 v19, v19, 2.0, -v6
	v_add_f32_e32 v20, v22, v6
	v_add_f32_e32 v64, v49, v4
	v_fmamk_f32 v4, v60, 0x3f6c835e, v47
	v_fma_f32 v43, v43, 2.0, -v24
	v_sub_f32_e32 v16, v15, v19
	v_fma_f32 v19, v22, 2.0, -v20
	v_fma_f32 v22, v5, 2.0, -v60
	v_sub_f32_e32 v50, v13, v17
	v_fma_f32 v17, v51, 2.0, -v11
	v_fma_f32 v18, v15, 2.0, -v16
	v_fmac_f32_e32 v7, 0xbf3504f3, v19
	v_fmac_f32_e32 v9, 0xbf6c835e, v22
	v_fmamk_f32 v5, v61, 0x3f6c835e, v54
	v_fma_f32 v46, v13, 2.0, -v50
	v_fmamk_f32 v13, v66, 0x3ec3ef15, v63
	v_fma_f32 v49, v49, 2.0, -v64
	v_fma_f32 v51, v8, 2.0, -v66
	v_fmac_f32_e32 v5, 0xbec3ef15, v60
	v_fmamk_f32 v0, v20, 0x3f3504f3, v64
	v_fmamk_f32 v8, v22, 0xbec3ef15, v68
	;; [unrolled: 1-line block ×4, first 2 shown]
	v_fmac_f32_e32 v1, 0xbf3504f3, v20
	v_fmac_f32_e32 v4, 0x3ec3ef15, v61
	v_sub_f32_e32 v15, v45, v17
	v_fmamk_f32 v17, v43, 0xbf6c835e, v52
	v_fmac_f32_e32 v0, 0x3f3504f3, v44
	v_fmac_f32_e32 v13, 0xbf6c835e, v24
	v_add_f32_e32 v10, v48, v16
	s_delay_alu instid0(VALU_DEP_4)
	v_dual_sub_f32 v16, v46, v18 :: v_dual_fmac_f32 v17, 0x3ec3ef15, v51
	v_fmamk_f32 v18, v51, 0xbf6c835e, v53
	v_fmac_f32_e32 v6, 0x3f3504f3, v21
	v_fmac_f32_e32 v8, 0x3f6c835e, v23
	v_dual_sub_f32 v11, v50, v11 :: v_dual_fmac_f32 v12, 0x3f6c835e, v66
	v_fma_f32 v21, v64, 2.0, -v0
	v_fma_f32 v22, v65, 2.0, -v1
	;; [unrolled: 1-line block ×4, first 2 shown]
	v_fmac_f32_e32 v18, 0xbec3ef15, v43
	ds_store_2addr_b64 v25, v[0:1], v[4:5] offset0:42 offset1:45
	v_fma_f32 v0, v45, 2.0, -v15
	v_fma_f32 v1, v46, 2.0, -v16
	;; [unrolled: 1-line block ×10, first 2 shown]
	ds_store_2addr_b64 v25, v[21:22], v[23:24] offset0:18 offset1:21
	ds_store_2addr_b64 v25, v[6:7], v[8:9] offset0:30 offset1:33
	v_fma_f32 v6, v52, 2.0, -v17
	v_fma_f32 v7, v53, 2.0, -v18
	ds_store_2addr_b64 v25, v[10:11], v[12:13] offset0:36 offset1:39
	ds_store_2addr_b64 v25, v[43:44], v[45:46] offset0:6 offset1:9
	;; [unrolled: 1-line block ×4, first 2 shown]
	ds_store_2addr_b64 v25, v[0:1], v[6:7] offset1:3
	s_waitcnt lgkmcnt(0)
	s_barrier
	buffer_gl0_inv
	ds_load_2addr_b64 v[18:21], v31 offset0:144 offset1:171
	ds_load_2addr_b64 v[6:9], v88 offset0:124 offset1:160
	ds_load_2addr_b64 v[22:25], v14 offset0:59 offset1:86
	ds_load_2addr_b64 v[10:13], v31 offset0:198 offset1:225
	ds_load_b64 v[53:54], v56
	ds_load_b64 v[51:52], v57
	;; [unrolled: 1-line block ×4, first 2 shown]
	ds_load_2addr_b64 v[14:17], v14 offset0:113 offset1:140
	ds_load_b64 v[45:46], v58
	s_and_saveexec_b32 s1, s0
	s_cbranch_execz .LBB0_17
; %bb.16:
	v_add_nc_u32_e32 v0, 0x800, v31
	ds_load_2addr_b64 v[0:3], v0 offset0:23 offset1:167
	ds_load_b64 v[4:5], v59
	s_waitcnt lgkmcnt(1)
	v_dual_mov_b32 v42, v1 :: v_dual_mov_b32 v41, v0
.LBB0_17:
	s_or_b32 exec_lo, exec_lo, s1
	v_dual_mov_b32 v1, 0 :: v_dual_lshlrev_b32 v0, 1, v28
	v_subrev_nc_u32_e32 v43, 21, v28
	v_cmp_gt_u32_e64 s1, 21, v28
	s_delay_alu instid0(VALU_DEP_3) | instskip(NEXT) | instid1(VALU_DEP_2)
	v_mov_b32_e32 v61, v1
	v_cndmask_b32_e64 v85, v43, v30, s1
	v_lshlrev_b64 v[43:44], 3, v[0:1]
	v_add_nc_u32_e32 v0, 12, v0
	s_delay_alu instid0(VALU_DEP_3) | instskip(NEXT) | instid1(VALU_DEP_3)
	v_lshlrev_b32_e32 v60, 1, v85
	v_add_co_u32 v43, s1, s8, v43
	s_delay_alu instid0(VALU_DEP_1) | instskip(NEXT) | instid1(VALU_DEP_4)
	v_add_co_ci_u32_e64 v44, s1, s9, v44, s1
	v_lshlrev_b64 v[0:1], 3, v[0:1]
	s_delay_alu instid0(VALU_DEP_4) | instskip(SKIP_3) | instid1(VALU_DEP_1)
	v_lshlrev_b64 v[65:66], 3, v[60:61]
	global_load_b128 v[61:64], v[43:44], off offset:360
	v_and_b32_e32 v71, 0xff, v38
	v_add_co_u32 v0, s1, s8, v0
	v_add_co_ci_u32_e64 v1, s1, s9, v1, s1
	v_add_co_u32 v69, s1, s8, v65
	s_delay_alu instid0(VALU_DEP_1)
	v_add_co_ci_u32_e64 v70, s1, s9, v66, s1
	global_load_b128 v[65:68], v[0:1], off offset:360
	v_mul_lo_u16 v1, 0xab, v71
	v_and_b32_e32 v0, 0xff, v36
	global_load_b128 v[69:72], v[69:70], off offset:360
	v_cmp_lt_u32_e64 s1, 20, v28
	v_and_b32_e32 v60, 0xff, v34
	v_lshrrev_b16 v1, 13, v1
	v_mul_lo_u16 v0, 0xab, v0
	s_delay_alu instid0(VALU_DEP_4) | instskip(NEXT) | instid1(VALU_DEP_3)
	v_cndmask_b32_e64 v87, 0, 0x480, s1
	v_mul_lo_u16 v73, v1, 48
	s_delay_alu instid0(VALU_DEP_3) | instskip(SKIP_1) | instid1(VALU_DEP_3)
	v_lshrrev_b16 v0, 13, v0
	v_and_b32_e32 v1, 0xffff, v1
	v_sub_nc_u16 v73, v38, v73
	s_delay_alu instid0(VALU_DEP_3) | instskip(NEXT) | instid1(VALU_DEP_3)
	v_mul_lo_u16 v0, v0, 48
	v_mad_u32_u24 v1, 0x480, v1, 0
	s_delay_alu instid0(VALU_DEP_3) | instskip(NEXT) | instid1(VALU_DEP_3)
	v_and_b32_e32 v86, 0xff, v73
	v_sub_nc_u16 v0, v36, v0
	s_delay_alu instid0(VALU_DEP_2)
	v_lshlrev_b32_e32 v73, 4, v86
	v_lshlrev_b32_e32 v86, 3, v86
	global_load_b128 v[73:76], v73, s[8:9] offset:360
	v_and_b32_e32 v0, 0xff, v0
	v_add3_u32 v86, v1, v86, v35
	v_add_nc_u32_e32 v87, 0, v87
	v_lshlrev_b32_e32 v85, 3, v85
	s_delay_alu instid0(VALU_DEP_4) | instskip(NEXT) | instid1(VALU_DEP_2)
	v_lshlrev_b32_e32 v77, 4, v0
	v_add3_u32 v85, v87, v85, v35
	s_waitcnt vmcnt(3) lgkmcnt(9)
	v_mul_f32_e32 v1, v62, v18
	s_delay_alu instid0(VALU_DEP_1) | instskip(SKIP_1) | instid1(VALU_DEP_1)
	v_fma_f32 v1, v61, v19, -v1
	v_lshlrev_b32_e32 v0, 3, v0
	v_add3_u32 v87, 0, v0, v35
	s_waitcnt vmcnt(2) lgkmcnt(7)
	v_dual_mul_f32 v0, v62, v19 :: v_dual_mul_f32 v19, v68, v25
	v_mul_lo_u16 v60, 0xab, v60
	v_mul_f32_e32 v62, v64, v9
	v_mul_f32_e32 v64, v64, v8
	s_delay_alu instid0(VALU_DEP_4) | instskip(NEXT) | instid1(VALU_DEP_4)
	v_dual_fmac_f32 v0, v61, v18 :: v_dual_mul_f32 v61, v68, v24
	v_lshrrev_b16 v60, 13, v60
	s_delay_alu instid0(VALU_DEP_4) | instskip(NEXT) | instid1(VALU_DEP_4)
	v_fmac_f32_e32 v62, v63, v8
	v_fma_f32 v8, v63, v9, -v64
	s_waitcnt lgkmcnt(6)
	v_mul_f32_e32 v9, v66, v11
	s_waitcnt vmcnt(1)
	v_mul_f32_e32 v63, v70, v21
	v_mul_lo_u16 v60, v60, 48
	v_mul_f32_e32 v64, v70, v20
	v_mul_f32_e32 v68, v72, v22
	v_fmac_f32_e32 v9, v65, v10
	v_fmac_f32_e32 v63, v69, v20
	v_sub_nc_u16 v60, v34, v60
	v_dual_fmac_f32 v19, v67, v24 :: v_dual_mul_f32 v18, v66, v10
	v_mul_f32_e32 v66, v72, v23
	v_add_nc_u32_e32 v88, 0x800, v87
	s_delay_alu instid0(VALU_DEP_4)
	v_and_b32_e32 v60, 0xff, v60
	v_fma_f32 v20, v69, v21, -v64
	v_fma_f32 v10, v65, v11, -v18
	v_add_f32_e32 v65, v1, v8
	v_fma_f32 v11, v67, v25, -v61
	v_lshlrev_b32_e32 v81, 4, v60
	s_clause 0x1
	global_load_b128 v[77:80], v77, s[8:9] offset:360
	global_load_b128 v[81:84], v81, s[8:9] offset:360
	s_waitcnt lgkmcnt(5)
	v_dual_add_f32 v18, v53, v0 :: v_dual_sub_f32 v67, v0, v62
	v_dual_add_f32 v61, v54, v1 :: v_dual_add_f32 v24, v0, v62
	v_dual_fmac_f32 v54, -0.5, v65 :: v_dual_sub_f32 v25, v1, v8
	v_fmac_f32_e32 v66, v71, v22
	v_fma_f32 v21, v71, v23, -v68
	v_sub_f32_e32 v23, v10, v11
	v_add_f32_e32 v1, v61, v8
	v_fma_f32 v53, -0.5, v24, v53
	v_add_f32_e32 v0, v18, v62
	s_waitcnt vmcnt(2) lgkmcnt(3)
	v_dual_add_f32 v18, v49, v9 :: v_dual_mul_f32 v65, v74, v12
	s_waitcnt lgkmcnt(1)
	v_dual_add_f32 v22, v9, v19 :: v_dual_mul_f32 v69, v14, v76
	v_add_f32_e32 v61, v10, v11
	v_add_f32_e32 v24, v50, v10
	v_sub_f32_e32 v62, v9, v19
	v_dual_mul_f32 v64, v74, v13 :: v_dual_fmamk_f32 v9, v67, 0x3f5db3d7, v54
	s_delay_alu instid0(VALU_DEP_3)
	v_dual_mul_f32 v68, v15, v76 :: v_dual_add_f32 v11, v24, v11
	v_fmac_f32_e32 v54, 0xbf5db3d7, v67
	v_add_f32_e32 v67, v51, v63
	v_fma_f32 v49, -0.5, v22, v49
	v_fmac_f32_e32 v64, v73, v12
	v_fma_f32 v12, v73, v13, -v65
	v_fma_f32 v13, v15, v75, -v69
	v_fmac_f32_e32 v68, v14, v75
	v_fmamk_f32 v8, v25, 0xbf5db3d7, v53
	v_fmac_f32_e32 v53, 0x3f5db3d7, v25
	s_waitcnt vmcnt(0) lgkmcnt(0)
	s_barrier
	buffer_gl0_inv
	v_mul_f32_e32 v71, v6, v78
	v_dual_mul_f32 v70, v7, v78 :: v_dual_mul_f32 v25, v2, v84
	v_mul_f32_e32 v72, v17, v80
	v_mul_f32_e32 v76, v42, v82
	s_delay_alu instid0(VALU_DEP_4)
	v_fma_f32 v14, v7, v77, -v71
	v_add_f32_e32 v22, v52, v20
	v_mul_f32_e32 v74, v16, v80
	v_mul_f32_e32 v80, v3, v84
	v_fmac_f32_e32 v70, v6, v77
	v_fmamk_f32 v6, v23, 0xbf5db3d7, v49
	v_fmac_f32_e32 v49, 0x3f5db3d7, v23
	v_fma_f32 v15, v17, v79, -v74
	v_fmac_f32_e32 v76, v41, v81
	v_dual_add_f32 v10, v18, v19 :: v_dual_sub_f32 v19, v20, v21
	v_fmac_f32_e32 v72, v16, v79
	v_add_f32_e32 v18, v63, v66
	v_add_f32_e32 v20, v20, v21
	v_fmac_f32_e32 v50, -0.5, v61
	v_mul_f32_e32 v78, v41, v82
	v_fma_f32 v17, v3, v83, -v25
	v_add_f32_e32 v25, v70, v72
	v_sub_f32_e32 v41, v14, v15
	v_add_f32_e32 v3, v22, v21
	v_dual_add_f32 v21, v12, v13 :: v_dual_fmac_f32 v80, v2, v83
	v_fma_f32 v51, -0.5, v18, v51
	v_add_f32_e32 v23, v45, v70
	ds_store_2addr_b64 v31, v[0:1], v[8:9] offset1:48
	ds_store_b64 v31, v[53:54] offset:768
	v_add_f32_e32 v53, v14, v15
	v_sub_f32_e32 v65, v76, v80
	v_fmamk_f32 v7, v62, 0x3f5db3d7, v50
	v_fma_f32 v16, v42, v81, -v78
	v_fma_f32 v45, -0.5, v25, v45
	v_fmac_f32_e32 v52, -0.5, v20
	v_add_f32_e32 v20, v48, v12
	s_delay_alu instid0(VALU_DEP_4)
	v_dual_sub_f32 v24, v63, v66 :: v_dual_sub_f32 v63, v16, v17
	v_add_f32_e32 v42, v46, v14
	v_fmamk_f32 v8, v19, 0xbf5db3d7, v51
	v_dual_fmac_f32 v51, 0x3f5db3d7, v19 :: v_dual_fmac_f32 v48, -0.5, v21
	v_fmac_f32_e32 v46, -0.5, v53
	v_sub_f32_e32 v18, v12, v13
	v_add_f32_e32 v13, v20, v13
	v_add_f32_e32 v1, v64, v68
	v_sub_f32_e32 v22, v64, v68
	v_add_f32_e32 v0, v47, v64
	v_add_f32_e32 v64, v5, v16
	;; [unrolled: 1-line block ×3, first 2 shown]
	v_fma_f32 v47, -0.5, v1, v47
	v_dual_add_f32 v15, v42, v15 :: v_dual_add_f32 v2, v67, v66
	v_fmamk_f32 v9, v24, 0x3f5db3d7, v52
	v_add_f32_e32 v1, v64, v17
	v_dual_fmac_f32 v5, -0.5, v16 :: v_dual_fmac_f32 v50, 0xbf5db3d7, v62
	v_add_f32_e32 v62, v76, v80
	v_fmac_f32_e32 v52, 0xbf5db3d7, v24
	v_add_f32_e32 v61, v4, v76
	ds_store_2addr_b64 v85, v[2:3], v[8:9] offset1:48
	ds_store_b64 v85, v[51:52] offset:768
	ds_store_2addr_b64 v31, v[10:11], v[6:7] offset0:150 offset1:198
	ds_store_b64 v31, v[49:50] offset:1968
	v_fmac_f32_e32 v4, -0.5, v62
	v_fmamk_f32 v6, v18, 0xbf5db3d7, v47
	v_dual_fmac_f32 v47, 0x3f5db3d7, v18 :: v_dual_sub_f32 v54, v70, v72
	v_dual_fmamk_f32 v7, v22, 0x3f5db3d7, v48 :: v_dual_add_f32 v12, v0, v68
	v_add_f32_e32 v0, v61, v80
	v_fmamk_f32 v2, v63, 0xbf5db3d7, v4
	v_dual_fmac_f32 v4, 0x3f5db3d7, v63 :: v_dual_fmamk_f32 v3, v65, 0x3f5db3d7, v5
	v_dual_fmac_f32 v5, 0xbf5db3d7, v65 :: v_dual_fmac_f32 v48, 0xbf5db3d7, v22
	v_add_f32_e32 v14, v23, v72
	v_fmamk_f32 v8, v41, 0xbf5db3d7, v45
	v_fmamk_f32 v9, v54, 0x3f5db3d7, v46
	v_fmac_f32_e32 v45, 0x3f5db3d7, v41
	v_fmac_f32_e32 v46, 0xbf5db3d7, v54
	ds_store_2addr_b64 v86, v[12:13], v[6:7] offset1:48
	ds_store_b64 v86, v[47:48] offset:768
	ds_store_2addr_b64 v88, v[14:15], v[8:9] offset0:32 offset1:80
	ds_store_b64 v87, v[45:46] offset:3072
	s_and_saveexec_b32 s1, s0
	s_cbranch_execz .LBB0_19
; %bb.18:
	v_lshlrev_b32_e32 v6, 3, v60
	s_delay_alu instid0(VALU_DEP_1) | instskip(NEXT) | instid1(VALU_DEP_1)
	v_add3_u32 v6, 0, v6, v35
	v_add_nc_u32_e32 v7, 0x800, v6
	ds_store_2addr_b64 v7, v[0:1], v[2:3] offset0:32 offset1:80
	ds_store_b64 v6, v[4:5] offset:3072
.LBB0_19:
	s_or_b32 exec_lo, exec_lo, s1
	v_add_nc_u32_e32 v6, 0x400, v31
	v_add_nc_u32_e32 v10, 0x800, v31
	s_waitcnt lgkmcnt(0)
	s_barrier
	buffer_gl0_inv
	ds_load_2addr_b64 v[22:25], v31 offset0:144 offset1:171
	ds_load_2addr_b64 v[6:9], v6 offset0:124 offset1:160
	;; [unrolled: 1-line block ×4, first 2 shown]
	ds_load_b64 v[51:52], v56
	ds_load_b64 v[49:50], v57
	;; [unrolled: 1-line block ×4, first 2 shown]
	ds_load_2addr_b64 v[10:13], v10 offset0:113 offset1:140
	ds_load_b64 v[41:42], v58
	s_and_saveexec_b32 s1, s0
	s_cbranch_execz .LBB0_21
; %bb.20:
	v_add_nc_u32_e32 v2, 0x800, v31
	ds_load_b64 v[0:1], v59
	ds_load_2addr_b64 v[2:5], v2 offset0:23 offset1:167
.LBB0_21:
	s_or_b32 exec_lo, exec_lo, s1
	global_load_b128 v[59:62], v[43:44], off offset:1128
	v_dual_mov_b32 v44, 0 :: v_dual_lshlrev_b32 v43, 1, v30
	s_delay_alu instid0(VALU_DEP_1) | instskip(NEXT) | instid1(VALU_DEP_1)
	v_lshlrev_b64 v[53:54], 3, v[43:44]
	v_add_co_u32 v53, s1, s8, v53
	s_delay_alu instid0(VALU_DEP_1) | instskip(SKIP_3) | instid1(VALU_DEP_1)
	v_add_co_ci_u32_e64 v54, s1, s9, v54, s1
	global_load_b128 v[63:66], v[53:54], off offset:1128
	s_waitcnt vmcnt(1) lgkmcnt(9)
	v_mul_f32_e32 v35, v60, v23
	v_fmac_f32_e32 v35, v59, v22
	v_lshlrev_b32_e32 v43, 1, v40
	s_delay_alu instid0(VALU_DEP_1) | instskip(SKIP_1) | instid1(VALU_DEP_1)
	v_lshlrev_b64 v[67:68], 3, v[43:44]
	v_lshlrev_b32_e32 v43, 1, v38
	v_lshlrev_b64 v[71:72], 3, v[43:44]
	s_delay_alu instid0(VALU_DEP_3) | instskip(NEXT) | instid1(VALU_DEP_1)
	v_add_co_u32 v53, s1, s8, v67
	v_add_co_ci_u32_e64 v54, s1, s9, v68, s1
	v_lshlrev_b32_e32 v43, 1, v36
	global_load_b128 v[67:70], v[53:54], off offset:1128
	v_add_co_u32 v53, s1, s8, v71
	s_delay_alu instid0(VALU_DEP_1)
	v_add_co_ci_u32_e64 v54, s1, s9, v72, s1
	global_load_b128 v[71:74], v[53:54], off offset:1128
	v_lshlrev_b64 v[53:54], 3, v[43:44]
	v_mul_f32_e32 v43, v60, v22
	s_waitcnt vmcnt(2) lgkmcnt(7)
	v_mul_f32_e32 v60, v66, v18
	s_delay_alu instid0(VALU_DEP_3) | instskip(NEXT) | instid1(VALU_DEP_1)
	v_add_co_u32 v53, s1, s8, v53
	v_add_co_ci_u32_e64 v54, s1, s9, v54, s1
	v_fma_f32 v22, v59, v23, -v43
	v_mul_f32_e32 v59, v66, v19
	global_load_b128 v[75:78], v[53:54], off offset:1128
	v_mul_f32_e32 v54, v62, v8
	v_mul_f32_e32 v53, v62, v9
	v_fmac_f32_e32 v59, v65, v18
	s_waitcnt vmcnt(0) lgkmcnt(0)
	s_barrier
	v_fma_f32 v9, v61, v9, -v54
	v_add_f32_e32 v54, v52, v22
	buffer_gl0_inv
	v_fma_f32 v18, v65, v19, -v60
	v_sub_f32_e32 v43, v22, v9
	v_add_f32_e32 v22, v22, v9
	v_dual_add_f32 v9, v54, v9 :: v_dual_mul_f32 v54, v64, v24
	s_delay_alu instid0(VALU_DEP_2) | instskip(SKIP_1) | instid1(VALU_DEP_1)
	v_dual_fmac_f32 v52, -0.5, v22 :: v_dual_fmac_f32 v53, v61, v8
	v_add_f32_e32 v8, v51, v35
	v_add_f32_e32 v8, v8, v53
	;; [unrolled: 1-line block ×3, first 2 shown]
	v_sub_f32_e32 v35, v35, v53
	v_mul_f32_e32 v53, v64, v25
	s_delay_alu instid0(VALU_DEP_3) | instskip(NEXT) | instid1(VALU_DEP_2)
	v_fma_f32 v51, -0.5, v23, v51
	v_fmac_f32_e32 v53, v63, v24
	v_fma_f32 v24, v63, v25, -v54
	s_delay_alu instid0(VALU_DEP_3) | instskip(SKIP_2) | instid1(VALU_DEP_1)
	v_fmamk_f32 v22, v43, 0xbf5db3d7, v51
	v_fmac_f32_e32 v51, 0x3f5db3d7, v43
	v_mul_f32_e32 v19, v68, v15
	v_fmac_f32_e32 v19, v67, v14
	v_mul_f32_e32 v25, v68, v14
	v_mul_f32_e32 v43, v70, v20
	s_delay_alu instid0(VALU_DEP_2) | instskip(NEXT) | instid1(VALU_DEP_2)
	v_fma_f32 v14, v67, v15, -v25
	v_fma_f32 v15, v69, v21, -v43
	v_sub_f32_e32 v25, v24, v18
	v_dual_add_f32 v43, v50, v24 :: v_dual_add_f32 v24, v24, v18
	v_fmamk_f32 v23, v35, 0x3f5db3d7, v52
	v_dual_fmac_f32 v52, 0xbf5db3d7, v35 :: v_dual_mul_f32 v35, v70, v21
	ds_store_2addr_b64 v31, v[8:9], v[22:23] offset1:144
	ds_store_b64 v31, v[51:52] offset:2304
	v_mul_f32_e32 v8, v72, v16
	v_add_f32_e32 v22, v49, v53
	v_mul_f32_e32 v52, v7, v76
	v_fmac_f32_e32 v50, -0.5, v24
	v_dual_add_f32 v24, v48, v14 :: v_dual_fmac_f32 v35, v69, v20
	v_mul_f32_e32 v20, v72, v17
	s_delay_alu instid0(VALU_DEP_4) | instskip(NEXT) | instid1(VALU_DEP_2)
	v_fmac_f32_e32 v52, v6, v75
	v_fmac_f32_e32 v20, v71, v16
	v_fma_f32 v16, v71, v17, -v8
	v_add_f32_e32 v8, v22, v59
	v_add_f32_e32 v23, v53, v59
	v_sub_f32_e32 v51, v53, v59
	v_mul_f32_e32 v9, v10, v74
	s_delay_alu instid0(VALU_DEP_3) | instskip(SKIP_1) | instid1(VALU_DEP_3)
	v_fma_f32 v49, -0.5, v23, v49
	v_mul_f32_e32 v21, v11, v74
	v_fma_f32 v17, v11, v73, -v9
	v_sub_f32_e32 v23, v14, v15
	v_add_f32_e32 v14, v14, v15
	s_delay_alu instid0(VALU_DEP_4) | instskip(SKIP_2) | instid1(VALU_DEP_3)
	v_dual_add_f32 v22, v19, v35 :: v_dual_fmac_f32 v21, v10, v73
	v_dual_mul_f32 v10, v6, v76 :: v_dual_add_f32 v9, v43, v18
	v_dual_add_f32 v18, v47, v19 :: v_dual_mul_f32 v53, v13, v78
	v_fma_f32 v47, -0.5, v22, v47
	s_delay_alu instid0(VALU_DEP_3) | instskip(SKIP_1) | instid1(VALU_DEP_4)
	v_fma_f32 v43, v7, v75, -v10
	v_add_f32_e32 v22, v46, v16
	v_add_f32_e32 v10, v18, v35
	v_sub_f32_e32 v18, v16, v17
	v_add_f32_e32 v16, v16, v17
	v_fmac_f32_e32 v48, -0.5, v14
	v_dual_add_f32 v14, v45, v20 :: v_dual_sub_f32 v19, v19, v35
	v_fmamk_f32 v6, v25, 0xbf5db3d7, v49
	s_delay_alu instid0(VALU_DEP_4) | instskip(NEXT) | instid1(VALU_DEP_3)
	v_dual_fmac_f32 v46, -0.5, v16 :: v_dual_mul_f32 v11, v12, v78
	v_add_f32_e32 v14, v14, v21
	v_fmac_f32_e32 v53, v12, v77
	v_fmamk_f32 v12, v23, 0xbf5db3d7, v47
	v_dual_fmac_f32 v49, 0x3f5db3d7, v25 :: v_dual_add_f32 v16, v41, v52
	v_fma_f32 v54, v13, v77, -v11
	v_add_f32_e32 v11, v24, v15
	v_add_f32_e32 v15, v20, v21
	v_dual_sub_f32 v20, v20, v21 :: v_dual_fmamk_f32 v13, v19, 0x3f5db3d7, v48
	v_fmac_f32_e32 v48, 0xbf5db3d7, v19
	v_fmamk_f32 v7, v51, 0x3f5db3d7, v50
	s_delay_alu instid0(VALU_DEP_4) | instskip(SKIP_4) | instid1(VALU_DEP_4)
	v_fma_f32 v45, -0.5, v15, v45
	v_dual_add_f32 v15, v22, v17 :: v_dual_add_f32 v22, v43, v54
	v_fmac_f32_e32 v47, 0x3f5db3d7, v23
	v_add_f32_e32 v21, v42, v43
	v_dual_sub_f32 v23, v52, v53 :: v_dual_fmac_f32 v50, 0xbf5db3d7, v51
	v_fmac_f32_e32 v42, -0.5, v22
	v_sub_f32_e32 v19, v43, v54
	ds_store_2addr_b64 v57, v[8:9], v[6:7] offset1:144
	ds_store_b64 v57, v[49:50] offset:2304
	ds_store_2addr_b64 v39, v[10:11], v[12:13] offset1:144
	v_fmamk_f32 v11, v23, 0x3f5db3d7, v42
	v_dual_fmac_f32 v42, 0xbf5db3d7, v23 :: v_dual_add_f32 v17, v52, v53
	v_fmamk_f32 v6, v18, 0xbf5db3d7, v45
	v_fmamk_f32 v7, v20, 0x3f5db3d7, v46
	v_fmac_f32_e32 v45, 0x3f5db3d7, v18
	v_fmac_f32_e32 v46, 0xbf5db3d7, v20
	v_fma_f32 v41, -0.5, v17, v41
	v_dual_add_f32 v8, v16, v53 :: v_dual_add_f32 v9, v21, v54
	s_delay_alu instid0(VALU_DEP_2)
	v_fmamk_f32 v10, v19, 0xbf5db3d7, v41
	v_fmac_f32_e32 v41, 0x3f5db3d7, v19
	ds_store_b64 v39, v[47:48] offset:2304
	ds_store_2addr_b64 v37, v[14:15], v[6:7] offset1:144
	ds_store_b64 v37, v[45:46] offset:2304
	ds_store_2addr_b64 v58, v[8:9], v[10:11] offset1:144
	ds_store_b64 v58, v[41:42] offset:2304
	s_and_saveexec_b32 s1, s0
	s_cbranch_execz .LBB0_23
; %bb.22:
	v_add_nc_u32_e32 v6, -9, v28
	s_delay_alu instid0(VALU_DEP_1) | instskip(NEXT) | instid1(VALU_DEP_1)
	v_cndmask_b32_e64 v6, v6, v34, s0
	v_lshlrev_b32_e32 v43, 1, v6
	s_delay_alu instid0(VALU_DEP_1) | instskip(NEXT) | instid1(VALU_DEP_1)
	v_lshlrev_b64 v[6:7], 3, v[43:44]
	v_add_co_u32 v6, s0, s8, v6
	s_delay_alu instid0(VALU_DEP_1)
	v_add_co_ci_u32_e64 v7, s0, s9, v7, s0
	global_load_b128 v[6:9], v[6:7], off offset:1128
	s_waitcnt vmcnt(0)
	v_dual_mul_f32 v10, v2, v7 :: v_dual_mul_f32 v11, v4, v9
	v_mul_f32_e32 v7, v3, v7
	v_mul_f32_e32 v9, v5, v9
	s_delay_alu instid0(VALU_DEP_3) | instskip(NEXT) | instid1(VALU_DEP_4)
	v_fma_f32 v3, v3, v6, -v10
	v_fma_f32 v5, v5, v8, -v11
	s_delay_alu instid0(VALU_DEP_4) | instskip(NEXT) | instid1(VALU_DEP_3)
	v_dual_fmac_f32 v7, v2, v6 :: v_dual_add_nc_u32 v6, 0x400, v31
	v_dual_fmac_f32 v9, v4, v8 :: v_dual_add_f32 v10, v1, v3
	s_delay_alu instid0(VALU_DEP_3) | instskip(SKIP_1) | instid1(VALU_DEP_3)
	v_add_f32_e32 v2, v3, v5
	v_sub_f32_e32 v11, v3, v5
	v_sub_f32_e32 v4, v7, v9
	s_delay_alu instid0(VALU_DEP_4) | instskip(NEXT) | instid1(VALU_DEP_4)
	v_add_f32_e32 v3, v10, v5
	v_fma_f32 v1, -0.5, v2, v1
	v_dual_add_f32 v8, v7, v9 :: v_dual_add_f32 v7, v0, v7
	s_delay_alu instid0(VALU_DEP_2) | instskip(NEXT) | instid1(VALU_DEP_2)
	v_fmamk_f32 v5, v4, 0xbf5db3d7, v1
	v_fma_f32 v0, -0.5, v8, v0
	s_delay_alu instid0(VALU_DEP_3) | instskip(NEXT) | instid1(VALU_DEP_2)
	v_dual_add_f32 v2, v7, v9 :: v_dual_fmac_f32 v1, 0x3f5db3d7, v4
	v_fmamk_f32 v4, v11, 0x3f5db3d7, v0
	v_fmac_f32_e32 v0, 0xbf5db3d7, v11
	ds_store_2addr_b64 v6, v[2:3], v[0:1] offset0:7 offset1:151
	ds_store_b64 v31, v[4:5] offset:3384
.LBB0_23:
	s_or_b32 exec_lo, exec_lo, s1
	s_waitcnt lgkmcnt(0)
	s_barrier
	buffer_gl0_inv
	ds_load_b64 v[4:5], v56
	v_sub_nc_u32_e32 v6, v55, v29
	s_mov_b32 s1, exec_lo
                                        ; implicit-def: $vgpr0
                                        ; implicit-def: $vgpr7
                                        ; implicit-def: $vgpr8
                                        ; implicit-def: $vgpr2_vgpr3
	v_cmpx_ne_u32_e32 0, v28
	s_xor_b32 s1, exec_lo, s1
	s_cbranch_execz .LBB0_25
; %bb.24:
	ds_load_b64 v[2:3], v6 offset:3456
	s_waitcnt lgkmcnt(0)
	v_dual_mov_b32 v29, 0 :: v_dual_add_f32 v8, v3, v5
	s_delay_alu instid0(VALU_DEP_1) | instskip(SKIP_2) | instid1(VALU_DEP_2)
	v_lshlrev_b64 v[0:1], 3, v[28:29]
	v_dual_sub_f32 v7, v4, v2 :: v_dual_add_f32 v2, v2, v4
	v_sub_f32_e32 v3, v5, v3
	v_mul_f32_e32 v5, 0.5, v7
	s_delay_alu instid0(VALU_DEP_4) | instskip(NEXT) | instid1(VALU_DEP_1)
	v_add_co_u32 v0, s0, s8, v0
	v_add_co_ci_u32_e64 v1, s0, s9, v1, s0
	s_delay_alu instid0(VALU_DEP_4) | instskip(SKIP_3) | instid1(VALU_DEP_1)
	v_mul_f32_e32 v3, 0.5, v3
	global_load_b64 v[0:1], v[0:1], off offset:3432
	s_waitcnt vmcnt(0)
	v_dual_mul_f32 v9, 0.5, v8 :: v_dual_mul_f32 v4, v1, v5
	v_fma_f32 v8, v9, v1, v3
	v_fma_f32 v1, v9, v1, -v3
	s_delay_alu instid0(VALU_DEP_3) | instskip(SKIP_1) | instid1(VALU_DEP_4)
	v_fma_f32 v7, 0.5, v2, v4
	v_fma_f32 v2, v2, 0.5, -v4
	v_fma_f32 v8, -v0, v5, v8
	s_delay_alu instid0(VALU_DEP_4) | instskip(NEXT) | instid1(VALU_DEP_4)
	v_fma_f32 v1, -v0, v5, v1
                                        ; implicit-def: $vgpr4_vgpr5
	v_fmac_f32_e32 v7, v0, v9
	s_delay_alu instid0(VALU_DEP_4)
	v_fma_f32 v0, -v0, v9, v2
	v_dual_mov_b32 v2, v28 :: v_dual_mov_b32 v3, v29
.LBB0_25:
	s_and_not1_saveexec_b32 s0, s1
	s_cbranch_execz .LBB0_27
; %bb.26:
	ds_load_b32 v1, v55 offset:1732
	s_waitcnt lgkmcnt(1)
	v_dual_add_f32 v7, v4, v5 :: v_dual_mov_b32 v2, 0
	v_dual_sub_f32 v0, v4, v5 :: v_dual_mov_b32 v3, 0
	v_mov_b32_e32 v8, 0
	s_waitcnt lgkmcnt(0)
	v_xor_b32_e32 v4, 0x80000000, v1
	v_mov_b32_e32 v1, 0
	ds_store_b32 v55, v4 offset:1732
.LBB0_27:
	s_or_b32 exec_lo, exec_lo, s0
	v_mov_b32_e32 v31, 0
	v_lshlrev_b64 v[2:3], 3, v[2:3]
	v_lshl_add_u32 v19, v30, 3, v55
	s_waitcnt lgkmcnt(0)
	s_delay_alu instid0(VALU_DEP_3) | instskip(SKIP_4) | instid1(VALU_DEP_4)
	v_lshlrev_b64 v[4:5], 3, v[30:31]
	v_mov_b32_e32 v41, v31
	v_mov_b32_e32 v39, v31
	v_mov_b32_e32 v37, v31
	v_mov_b32_e32 v35, v31
	v_lshlrev_b64 v[9:10], 3, v[40:41]
	v_add_co_u32 v4, s0, s8, v4
	s_delay_alu instid0(VALU_DEP_1) | instskip(SKIP_1) | instid1(VALU_DEP_4)
	v_add_co_ci_u32_e64 v5, s0, s9, v5, s0
	v_lshlrev_b64 v[11:12], 3, v[38:39]
	v_add_co_u32 v9, s0, s8, v9
	global_load_b64 v[4:5], v[4:5], off offset:3432
	v_add_co_ci_u32_e64 v10, s0, s9, v10, s0
	v_add_co_u32 v11, s0, s8, v11
	s_delay_alu instid0(VALU_DEP_1)
	v_add_co_ci_u32_e64 v12, s0, s9, v12, s0
	global_load_b64 v[9:10], v[9:10], off offset:3432
	v_lshlrev_b64 v[13:14], 3, v[36:37]
	v_lshlrev_b64 v[15:16], 3, v[34:35]
	global_load_b64 v[11:12], v[11:12], off offset:3432
	v_add_co_u32 v13, s0, s8, v13
	s_delay_alu instid0(VALU_DEP_1) | instskip(SKIP_1) | instid1(VALU_DEP_1)
	v_add_co_ci_u32_e64 v14, s0, s9, v14, s0
	v_add_co_u32 v15, s0, s8, v15
	v_add_co_ci_u32_e64 v16, s0, s9, v16, s0
	global_load_b64 v[13:14], v[13:14], off offset:3432
	s_add_u32 s0, s8, 0xd68
	s_addc_u32 s1, s9, 0
	global_load_b64 v[15:16], v[15:16], off offset:3432
	v_add_co_u32 v2, s0, s0, v2
	s_delay_alu instid0(VALU_DEP_1)
	v_add_co_ci_u32_e64 v3, s0, s1, v3, s0
	global_load_b64 v[17:18], v[2:3], off offset:1296
	ds_store_2addr_b32 v56, v7, v8 offset1:1
	ds_store_b64 v6, v[0:1] offset:3456
	global_load_b64 v[0:1], v[2:3], off offset:1512
	ds_load_b64 v[2:3], v19
	ds_load_b64 v[7:8], v6 offset:3240
	s_waitcnt lgkmcnt(0)
	v_dual_sub_f32 v20, v2, v7 :: v_dual_add_f32 v21, v3, v8
	v_dual_sub_f32 v3, v3, v8 :: v_dual_add_f32 v2, v2, v7
	s_delay_alu instid0(VALU_DEP_2) | instskip(NEXT) | instid1(VALU_DEP_2)
	v_mul_f32_e32 v8, 0.5, v20
	v_dual_mul_f32 v20, 0.5, v21 :: v_dual_mul_f32 v3, 0.5, v3
	s_waitcnt vmcnt(6)
	s_delay_alu instid0(VALU_DEP_2) | instskip(NEXT) | instid1(VALU_DEP_2)
	v_mul_f32_e32 v7, v5, v8
	v_fma_f32 v21, v20, v5, v3
	v_fma_f32 v3, v20, v5, -v3
	s_delay_alu instid0(VALU_DEP_3) | instskip(SKIP_1) | instid1(VALU_DEP_4)
	v_fma_f32 v5, 0.5, v2, v7
	v_fma_f32 v2, v2, 0.5, -v7
	v_fma_f32 v7, -v4, v8, v21
	s_delay_alu instid0(VALU_DEP_4)
	v_fma_f32 v3, -v4, v8, v3
	v_lshl_add_u32 v8, v40, 3, v55
	v_fmac_f32_e32 v5, v4, v20
	v_fma_f32 v2, -v4, v20, v2
	ds_store_2addr_b32 v19, v5, v7 offset1:1
	ds_store_b64 v6, v[2:3] offset:3240
	ds_load_b64 v[2:3], v8
	ds_load_b64 v[4:5], v6 offset:3024
	s_waitcnt lgkmcnt(0)
	v_sub_f32_e32 v7, v2, v4
	v_add_f32_e32 v19, v3, v5
	v_dual_sub_f32 v3, v3, v5 :: v_dual_add_f32 v2, v2, v4
	s_delay_alu instid0(VALU_DEP_3) | instskip(NEXT) | instid1(VALU_DEP_3)
	v_mul_f32_e32 v5, 0.5, v7
	v_mul_f32_e32 v7, 0.5, v19
	s_waitcnt vmcnt(5)
	s_delay_alu instid0(VALU_DEP_2) | instskip(NEXT) | instid1(VALU_DEP_1)
	v_dual_mul_f32 v3, 0.5, v3 :: v_dual_mul_f32 v4, v10, v5
	v_fma_f32 v19, v7, v10, v3
	v_fma_f32 v3, v7, v10, -v3
	s_delay_alu instid0(VALU_DEP_3) | instskip(SKIP_1) | instid1(VALU_DEP_4)
	v_fma_f32 v10, 0.5, v2, v4
	v_fma_f32 v2, v2, 0.5, -v4
	v_fma_f32 v4, -v9, v5, v19
	s_delay_alu instid0(VALU_DEP_4) | instskip(NEXT) | instid1(VALU_DEP_4)
	v_fma_f32 v3, -v9, v5, v3
	v_fmac_f32_e32 v10, v9, v7
	s_delay_alu instid0(VALU_DEP_4)
	v_fma_f32 v2, -v9, v7, v2
	v_lshl_add_u32 v7, v38, 3, v55
	ds_store_2addr_b32 v8, v10, v4 offset1:1
	ds_store_b64 v6, v[2:3] offset:3024
	ds_load_b64 v[2:3], v7
	ds_load_b64 v[4:5], v6 offset:2808
	s_waitcnt lgkmcnt(0)
	v_dual_sub_f32 v8, v2, v4 :: v_dual_add_f32 v9, v3, v5
	v_dual_sub_f32 v3, v3, v5 :: v_dual_add_f32 v2, v2, v4
	s_delay_alu instid0(VALU_DEP_2) | instskip(SKIP_1) | instid1(VALU_DEP_1)
	v_dual_mul_f32 v5, 0.5, v8 :: v_dual_mul_f32 v8, 0.5, v9
	s_waitcnt vmcnt(4)
	v_dual_mul_f32 v3, 0.5, v3 :: v_dual_mul_f32 v4, v12, v5
	s_delay_alu instid0(VALU_DEP_1) | instskip(SKIP_1) | instid1(VALU_DEP_3)
	v_fma_f32 v9, v8, v12, v3
	v_fma_f32 v3, v8, v12, -v3
	v_fma_f32 v10, 0.5, v2, v4
	v_fma_f32 v2, v2, 0.5, -v4
	s_delay_alu instid0(VALU_DEP_4) | instskip(NEXT) | instid1(VALU_DEP_4)
	v_fma_f32 v4, -v11, v5, v9
	v_fma_f32 v3, -v11, v5, v3
	s_delay_alu instid0(VALU_DEP_4) | instskip(NEXT) | instid1(VALU_DEP_4)
	v_fmac_f32_e32 v10, v11, v8
	v_fma_f32 v2, -v11, v8, v2
	v_lshl_add_u32 v8, v36, 3, v55
	ds_store_2addr_b32 v7, v10, v4 offset1:1
	ds_store_b64 v6, v[2:3] offset:2808
	ds_load_b64 v[2:3], v8
	ds_load_b64 v[4:5], v6 offset:2592
	s_waitcnt lgkmcnt(0)
	v_sub_f32_e32 v7, v2, v4
	v_add_f32_e32 v9, v3, v5
	v_dual_sub_f32 v3, v3, v5 :: v_dual_add_f32 v2, v2, v4
	s_delay_alu instid0(VALU_DEP_3) | instskip(NEXT) | instid1(VALU_DEP_3)
	v_mul_f32_e32 v5, 0.5, v7
	v_mul_f32_e32 v7, 0.5, v9
	s_waitcnt vmcnt(3)
	s_delay_alu instid0(VALU_DEP_2) | instskip(NEXT) | instid1(VALU_DEP_1)
	v_dual_mul_f32 v3, 0.5, v3 :: v_dual_mul_f32 v4, v14, v5
	v_fma_f32 v9, v7, v14, v3
	v_fma_f32 v3, v7, v14, -v3
	s_delay_alu instid0(VALU_DEP_3) | instskip(SKIP_1) | instid1(VALU_DEP_4)
	v_fma_f32 v10, 0.5, v2, v4
	v_fma_f32 v2, v2, 0.5, -v4
	v_fma_f32 v4, -v13, v5, v9
	s_delay_alu instid0(VALU_DEP_4) | instskip(NEXT) | instid1(VALU_DEP_4)
	v_fma_f32 v3, -v13, v5, v3
	v_fmac_f32_e32 v10, v13, v7
	s_delay_alu instid0(VALU_DEP_4)
	v_fma_f32 v2, -v13, v7, v2
	v_lshl_add_u32 v7, v34, 3, v55
	ds_store_2addr_b32 v8, v10, v4 offset1:1
	ds_store_b64 v6, v[2:3] offset:2592
	ds_load_b64 v[2:3], v7
	ds_load_b64 v[4:5], v6 offset:2376
	s_waitcnt lgkmcnt(0)
	v_dual_sub_f32 v8, v2, v4 :: v_dual_add_f32 v9, v3, v5
	v_dual_sub_f32 v3, v3, v5 :: v_dual_add_f32 v2, v2, v4
	s_delay_alu instid0(VALU_DEP_2) | instskip(SKIP_1) | instid1(VALU_DEP_1)
	v_dual_mul_f32 v5, 0.5, v8 :: v_dual_mul_f32 v8, 0.5, v9
	s_waitcnt vmcnt(2)
	v_dual_mul_f32 v3, 0.5, v3 :: v_dual_mul_f32 v4, v16, v5
	s_delay_alu instid0(VALU_DEP_1) | instskip(SKIP_1) | instid1(VALU_DEP_3)
	v_fma_f32 v9, v8, v16, v3
	v_fma_f32 v3, v8, v16, -v3
	v_fma_f32 v10, 0.5, v2, v4
	v_fma_f32 v2, v2, 0.5, -v4
	s_delay_alu instid0(VALU_DEP_4) | instskip(NEXT) | instid1(VALU_DEP_4)
	v_fma_f32 v4, -v15, v5, v9
	v_fma_f32 v3, -v15, v5, v3
	s_delay_alu instid0(VALU_DEP_4) | instskip(NEXT) | instid1(VALU_DEP_4)
	v_fmac_f32_e32 v10, v15, v8
	v_fma_f32 v2, -v15, v8, v2
	ds_store_2addr_b32 v7, v10, v4 offset1:1
	ds_store_b64 v6, v[2:3] offset:2376
	ds_load_b64 v[2:3], v56 offset:1296
	ds_load_b64 v[4:5], v6 offset:2160
	v_add_nc_u32_e32 v10, 0x400, v56
	s_waitcnt lgkmcnt(0)
	v_dual_sub_f32 v7, v2, v4 :: v_dual_add_f32 v8, v3, v5
	v_dual_sub_f32 v3, v3, v5 :: v_dual_add_f32 v2, v2, v4
	s_delay_alu instid0(VALU_DEP_2) | instskip(NEXT) | instid1(VALU_DEP_3)
	v_mul_f32_e32 v5, 0.5, v7
	v_mul_f32_e32 v7, 0.5, v8
	s_waitcnt vmcnt(1)
	s_delay_alu instid0(VALU_DEP_2) | instskip(NEXT) | instid1(VALU_DEP_1)
	v_dual_mul_f32 v3, 0.5, v3 :: v_dual_mul_f32 v4, v18, v5
	v_fma_f32 v8, v7, v18, v3
	v_fma_f32 v3, v7, v18, -v3
	s_delay_alu instid0(VALU_DEP_3) | instskip(SKIP_1) | instid1(VALU_DEP_4)
	v_fma_f32 v9, 0.5, v2, v4
	v_fma_f32 v2, v2, 0.5, -v4
	v_fma_f32 v4, -v17, v5, v8
	s_delay_alu instid0(VALU_DEP_4) | instskip(NEXT) | instid1(VALU_DEP_4)
	v_fma_f32 v3, -v17, v5, v3
	v_fmac_f32_e32 v9, v17, v7
	s_delay_alu instid0(VALU_DEP_4)
	v_fma_f32 v2, -v17, v7, v2
	ds_store_2addr_b32 v10, v9, v4 offset0:68 offset1:69
	ds_store_b64 v6, v[2:3] offset:2160
	ds_load_b64 v[2:3], v56 offset:1512
	ds_load_b64 v[4:5], v6 offset:1944
	s_waitcnt lgkmcnt(0)
	v_dual_add_f32 v8, v3, v5 :: v_dual_sub_f32 v7, v2, v4
	v_dual_sub_f32 v3, v3, v5 :: v_dual_add_f32 v2, v2, v4
	s_delay_alu instid0(VALU_DEP_2) | instskip(NEXT) | instid1(VALU_DEP_3)
	v_mul_f32_e32 v5, 0.5, v7
	v_mul_f32_e32 v7, 0.5, v8
	s_waitcnt vmcnt(0)
	s_delay_alu instid0(VALU_DEP_2) | instskip(NEXT) | instid1(VALU_DEP_1)
	v_dual_mul_f32 v3, 0.5, v3 :: v_dual_mul_f32 v4, v1, v5
	v_fma_f32 v8, v7, v1, v3
	v_fma_f32 v1, v7, v1, -v3
	s_delay_alu instid0(VALU_DEP_3) | instskip(SKIP_1) | instid1(VALU_DEP_4)
	v_fma_f32 v3, 0.5, v2, v4
	v_fma_f32 v2, v2, 0.5, -v4
	v_fma_f32 v4, -v0, v5, v8
	s_delay_alu instid0(VALU_DEP_4) | instskip(NEXT) | instid1(VALU_DEP_4)
	v_fma_f32 v1, -v0, v5, v1
	v_fmac_f32_e32 v3, v0, v7
	s_delay_alu instid0(VALU_DEP_4)
	v_fma_f32 v0, -v0, v7, v2
	ds_store_2addr_b32 v10, v3, v4 offset0:122 offset1:123
	ds_store_b64 v6, v[0:1] offset:1944
	s_waitcnt lgkmcnt(0)
	s_barrier
	buffer_gl0_inv
	s_and_saveexec_b32 s0, vcc_lo
	s_cbranch_execz .LBB0_30
; %bb.28:
	v_mul_lo_u32 v3, s3, v32
	v_mul_lo_u32 v4, s2, v33
	v_mad_u64_u32 v[0:1], null, s2, v32, 0
	v_dual_mov_b32 v29, v31 :: v_dual_add_nc_u32 v30, 27, v28
	v_lshlrev_b64 v[11:12], 3, v[26:27]
	v_lshl_add_u32 v2, v28, 3, v55
	s_delay_alu instid0(VALU_DEP_3)
	v_lshlrev_b64 v[13:14], 3, v[28:29]
	v_add3_u32 v1, v1, v4, v3
	v_lshlrev_b64 v[15:16], 3, v[30:31]
	ds_load_2addr_b64 v[3:6], v2 offset1:27
	v_add_nc_u32_e32 v30, 54, v28
	ds_load_2addr_b64 v[7:10], v2 offset0:54 offset1:81
	v_lshlrev_b64 v[0:1], 3, v[0:1]
	v_add_nc_u32_e32 v21, 0x800, v2
	v_lshlrev_b64 v[17:18], 3, v[30:31]
	v_add_nc_u32_e32 v30, 0x51, v28
	s_delay_alu instid0(VALU_DEP_4) | instskip(SKIP_1) | instid1(VALU_DEP_2)
	v_add_co_u32 v0, vcc_lo, s6, v0
	v_add_co_ci_u32_e32 v1, vcc_lo, s7, v1, vcc_lo
	v_add_co_u32 v0, vcc_lo, v0, v11
	s_delay_alu instid0(VALU_DEP_2) | instskip(NEXT) | instid1(VALU_DEP_2)
	v_add_co_ci_u32_e32 v1, vcc_lo, v1, v12, vcc_lo
	v_add_co_u32 v11, vcc_lo, v0, v13
	s_delay_alu instid0(VALU_DEP_2)
	v_add_co_ci_u32_e32 v12, vcc_lo, v1, v14, vcc_lo
	v_add_co_u32 v13, vcc_lo, v0, v15
	v_add_co_ci_u32_e32 v14, vcc_lo, v1, v16, vcc_lo
	v_lshlrev_b64 v[15:16], 3, v[30:31]
	v_add_nc_u32_e32 v30, 0x6c, v28
	v_add_co_u32 v17, vcc_lo, v0, v17
	v_add_co_ci_u32_e32 v18, vcc_lo, v1, v18, vcc_lo
	s_delay_alu instid0(VALU_DEP_4) | instskip(NEXT) | instid1(VALU_DEP_4)
	v_add_co_u32 v15, vcc_lo, v0, v15
	v_lshlrev_b64 v[19:20], 3, v[30:31]
	v_add_nc_u32_e32 v30, 0x87, v28
	v_add_co_ci_u32_e32 v16, vcc_lo, v1, v16, vcc_lo
	s_waitcnt lgkmcnt(1)
	s_clause 0x1
	global_store_b64 v[11:12], v[3:4], off
	global_store_b64 v[13:14], v[5:6], off
	s_waitcnt lgkmcnt(0)
	s_clause 0x1
	global_store_b64 v[17:18], v[7:8], off
	global_store_b64 v[15:16], v[9:10], off
	ds_load_2addr_b64 v[3:6], v2 offset0:108 offset1:135
	v_lshlrev_b64 v[11:12], 3, v[30:31]
	v_add_nc_u32_e32 v30, 0xa2, v28
	ds_load_2addr_b64 v[7:10], v2 offset0:162 offset1:189
	v_add_co_u32 v13, vcc_lo, v0, v19
	v_add_co_ci_u32_e32 v14, vcc_lo, v1, v20, vcc_lo
	v_lshlrev_b64 v[15:16], 3, v[30:31]
	v_add_nc_u32_e32 v30, 0xbd, v28
	v_add_co_u32 v11, vcc_lo, v0, v11
	v_add_co_ci_u32_e32 v12, vcc_lo, v1, v12, vcc_lo
	s_delay_alu instid0(VALU_DEP_3) | instskip(SKIP_3) | instid1(VALU_DEP_4)
	v_lshlrev_b64 v[17:18], 3, v[30:31]
	v_add_nc_u32_e32 v30, 0xd8, v28
	v_add_co_u32 v15, vcc_lo, v0, v15
	v_add_co_ci_u32_e32 v16, vcc_lo, v1, v16, vcc_lo
	v_add_co_u32 v17, vcc_lo, v0, v17
	s_delay_alu instid0(VALU_DEP_4)
	v_lshlrev_b64 v[19:20], 3, v[30:31]
	v_add_nc_u32_e32 v30, 0xf3, v28
	v_add_co_ci_u32_e32 v18, vcc_lo, v1, v18, vcc_lo
	s_waitcnt lgkmcnt(1)
	s_clause 0x1
	global_store_b64 v[13:14], v[3:4], off
	global_store_b64 v[11:12], v[5:6], off
	s_waitcnt lgkmcnt(0)
	s_clause 0x1
	global_store_b64 v[15:16], v[7:8], off
	global_store_b64 v[17:18], v[9:10], off
	ds_load_2addr_b64 v[3:6], v2 offset0:216 offset1:243
	v_lshlrev_b64 v[11:12], 3, v[30:31]
	v_add_nc_u32_e32 v30, 0x10e, v28
	ds_load_2addr_b64 v[7:10], v21 offset0:14 offset1:41
	v_add_co_u32 v13, vcc_lo, v0, v19
	v_add_co_ci_u32_e32 v14, vcc_lo, v1, v20, vcc_lo
	v_lshlrev_b64 v[15:16], 3, v[30:31]
	v_add_nc_u32_e32 v30, 0x129, v28
	v_add_co_u32 v11, vcc_lo, v0, v11
	v_add_co_ci_u32_e32 v12, vcc_lo, v1, v12, vcc_lo
	s_delay_alu instid0(VALU_DEP_3) | instskip(SKIP_3) | instid1(VALU_DEP_3)
	v_lshlrev_b64 v[17:18], 3, v[30:31]
	v_add_nc_u32_e32 v30, 0x144, v28
	v_add_co_u32 v15, vcc_lo, v0, v15
	v_add_co_ci_u32_e32 v16, vcc_lo, v1, v16, vcc_lo
	v_lshlrev_b64 v[19:20], 3, v[30:31]
	v_add_nc_u32_e32 v30, 0x15f, v28
	v_add_co_u32 v17, vcc_lo, v0, v17
	v_add_co_ci_u32_e32 v18, vcc_lo, v1, v18, vcc_lo
	s_waitcnt lgkmcnt(1)
	s_clause 0x1
	global_store_b64 v[13:14], v[3:4], off
	global_store_b64 v[11:12], v[5:6], off
	s_waitcnt lgkmcnt(0)
	s_clause 0x1
	global_store_b64 v[15:16], v[7:8], off
	global_store_b64 v[17:18], v[9:10], off
	v_lshlrev_b64 v[11:12], 3, v[30:31]
	v_add_nc_u32_e32 v30, 0x17a, v28
	ds_load_2addr_b64 v[3:6], v21 offset0:68 offset1:95
	ds_load_2addr_b64 v[7:10], v21 offset0:122 offset1:149
	v_add_co_u32 v13, vcc_lo, v0, v19
	v_lshlrev_b64 v[15:16], 3, v[30:31]
	v_add_nc_u32_e32 v30, 0x195, v28
	v_add_co_ci_u32_e32 v14, vcc_lo, v1, v20, vcc_lo
	v_add_co_u32 v11, vcc_lo, v0, v11
	s_delay_alu instid0(VALU_DEP_3) | instskip(SKIP_3) | instid1(VALU_DEP_4)
	v_lshlrev_b64 v[17:18], 3, v[30:31]
	v_add_co_ci_u32_e32 v12, vcc_lo, v1, v12, vcc_lo
	v_add_co_u32 v15, vcc_lo, v0, v15
	v_add_co_ci_u32_e32 v16, vcc_lo, v1, v16, vcc_lo
	v_add_co_u32 v17, vcc_lo, v0, v17
	v_add_co_ci_u32_e32 v18, vcc_lo, v1, v18, vcc_lo
	v_cmp_eq_u32_e32 vcc_lo, 26, v28
	s_waitcnt lgkmcnt(1)
	s_clause 0x1
	global_store_b64 v[13:14], v[3:4], off
	global_store_b64 v[11:12], v[5:6], off
	s_waitcnt lgkmcnt(0)
	s_clause 0x1
	global_store_b64 v[15:16], v[7:8], off
	global_store_b64 v[17:18], v[9:10], off
	s_and_b32 exec_lo, exec_lo, vcc_lo
	s_cbranch_execz .LBB0_30
; %bb.29:
	ds_load_b64 v[2:3], v2 offset:3248
	s_waitcnt lgkmcnt(0)
	global_store_b64 v[0:1], v[2:3], off offset:3456
.LBB0_30:
	s_nop 0
	s_sendmsg sendmsg(MSG_DEALLOC_VGPRS)
	s_endpgm
	.section	.rodata,"a",@progbits
	.p2align	6, 0x0
	.amdhsa_kernel fft_rtc_back_len432_factors_3_16_3_3_wgs_54_tpt_27_halfLds_sp_op_CI_CI_unitstride_sbrr_R2C_dirReg
		.amdhsa_group_segment_fixed_size 0
		.amdhsa_private_segment_fixed_size 0
		.amdhsa_kernarg_size 104
		.amdhsa_user_sgpr_count 15
		.amdhsa_user_sgpr_dispatch_ptr 0
		.amdhsa_user_sgpr_queue_ptr 0
		.amdhsa_user_sgpr_kernarg_segment_ptr 1
		.amdhsa_user_sgpr_dispatch_id 0
		.amdhsa_user_sgpr_private_segment_size 0
		.amdhsa_wavefront_size32 1
		.amdhsa_uses_dynamic_stack 0
		.amdhsa_enable_private_segment 0
		.amdhsa_system_sgpr_workgroup_id_x 1
		.amdhsa_system_sgpr_workgroup_id_y 0
		.amdhsa_system_sgpr_workgroup_id_z 0
		.amdhsa_system_sgpr_workgroup_info 0
		.amdhsa_system_vgpr_workitem_id 0
		.amdhsa_next_free_vgpr 93
		.amdhsa_next_free_sgpr 27
		.amdhsa_reserve_vcc 1
		.amdhsa_float_round_mode_32 0
		.amdhsa_float_round_mode_16_64 0
		.amdhsa_float_denorm_mode_32 3
		.amdhsa_float_denorm_mode_16_64 3
		.amdhsa_dx10_clamp 1
		.amdhsa_ieee_mode 1
		.amdhsa_fp16_overflow 0
		.amdhsa_workgroup_processor_mode 1
		.amdhsa_memory_ordered 1
		.amdhsa_forward_progress 0
		.amdhsa_shared_vgpr_count 0
		.amdhsa_exception_fp_ieee_invalid_op 0
		.amdhsa_exception_fp_denorm_src 0
		.amdhsa_exception_fp_ieee_div_zero 0
		.amdhsa_exception_fp_ieee_overflow 0
		.amdhsa_exception_fp_ieee_underflow 0
		.amdhsa_exception_fp_ieee_inexact 0
		.amdhsa_exception_int_div_zero 0
	.end_amdhsa_kernel
	.text
.Lfunc_end0:
	.size	fft_rtc_back_len432_factors_3_16_3_3_wgs_54_tpt_27_halfLds_sp_op_CI_CI_unitstride_sbrr_R2C_dirReg, .Lfunc_end0-fft_rtc_back_len432_factors_3_16_3_3_wgs_54_tpt_27_halfLds_sp_op_CI_CI_unitstride_sbrr_R2C_dirReg
                                        ; -- End function
	.section	.AMDGPU.csdata,"",@progbits
; Kernel info:
; codeLenInByte = 9820
; NumSgprs: 29
; NumVgprs: 93
; ScratchSize: 0
; MemoryBound: 0
; FloatMode: 240
; IeeeMode: 1
; LDSByteSize: 0 bytes/workgroup (compile time only)
; SGPRBlocks: 3
; VGPRBlocks: 11
; NumSGPRsForWavesPerEU: 29
; NumVGPRsForWavesPerEU: 93
; Occupancy: 16
; WaveLimiterHint : 1
; COMPUTE_PGM_RSRC2:SCRATCH_EN: 0
; COMPUTE_PGM_RSRC2:USER_SGPR: 15
; COMPUTE_PGM_RSRC2:TRAP_HANDLER: 0
; COMPUTE_PGM_RSRC2:TGID_X_EN: 1
; COMPUTE_PGM_RSRC2:TGID_Y_EN: 0
; COMPUTE_PGM_RSRC2:TGID_Z_EN: 0
; COMPUTE_PGM_RSRC2:TIDIG_COMP_CNT: 0
	.text
	.p2alignl 7, 3214868480
	.fill 96, 4, 3214868480
	.type	__hip_cuid_7d655589fb8f2915,@object ; @__hip_cuid_7d655589fb8f2915
	.section	.bss,"aw",@nobits
	.globl	__hip_cuid_7d655589fb8f2915
__hip_cuid_7d655589fb8f2915:
	.byte	0                               ; 0x0
	.size	__hip_cuid_7d655589fb8f2915, 1

	.ident	"AMD clang version 19.0.0git (https://github.com/RadeonOpenCompute/llvm-project roc-6.4.0 25133 c7fe45cf4b819c5991fe208aaa96edf142730f1d)"
	.section	".note.GNU-stack","",@progbits
	.addrsig
	.addrsig_sym __hip_cuid_7d655589fb8f2915
	.amdgpu_metadata
---
amdhsa.kernels:
  - .args:
      - .actual_access:  read_only
        .address_space:  global
        .offset:         0
        .size:           8
        .value_kind:     global_buffer
      - .offset:         8
        .size:           8
        .value_kind:     by_value
      - .actual_access:  read_only
        .address_space:  global
        .offset:         16
        .size:           8
        .value_kind:     global_buffer
      - .actual_access:  read_only
        .address_space:  global
        .offset:         24
        .size:           8
        .value_kind:     global_buffer
      - .actual_access:  read_only
        .address_space:  global
        .offset:         32
        .size:           8
        .value_kind:     global_buffer
      - .offset:         40
        .size:           8
        .value_kind:     by_value
      - .actual_access:  read_only
        .address_space:  global
        .offset:         48
        .size:           8
        .value_kind:     global_buffer
      - .actual_access:  read_only
        .address_space:  global
        .offset:         56
        .size:           8
        .value_kind:     global_buffer
      - .offset:         64
        .size:           4
        .value_kind:     by_value
      - .actual_access:  read_only
        .address_space:  global
        .offset:         72
        .size:           8
        .value_kind:     global_buffer
      - .actual_access:  read_only
        .address_space:  global
        .offset:         80
        .size:           8
        .value_kind:     global_buffer
      - .actual_access:  read_only
        .address_space:  global
        .offset:         88
        .size:           8
        .value_kind:     global_buffer
      - .actual_access:  write_only
        .address_space:  global
        .offset:         96
        .size:           8
        .value_kind:     global_buffer
    .group_segment_fixed_size: 0
    .kernarg_segment_align: 8
    .kernarg_segment_size: 104
    .language:       OpenCL C
    .language_version:
      - 2
      - 0
    .max_flat_workgroup_size: 54
    .name:           fft_rtc_back_len432_factors_3_16_3_3_wgs_54_tpt_27_halfLds_sp_op_CI_CI_unitstride_sbrr_R2C_dirReg
    .private_segment_fixed_size: 0
    .sgpr_count:     29
    .sgpr_spill_count: 0
    .symbol:         fft_rtc_back_len432_factors_3_16_3_3_wgs_54_tpt_27_halfLds_sp_op_CI_CI_unitstride_sbrr_R2C_dirReg.kd
    .uniform_work_group_size: 1
    .uses_dynamic_stack: false
    .vgpr_count:     93
    .vgpr_spill_count: 0
    .wavefront_size: 32
    .workgroup_processor_mode: 1
amdhsa.target:   amdgcn-amd-amdhsa--gfx1100
amdhsa.version:
  - 1
  - 2
...

	.end_amdgpu_metadata
